;; amdgpu-corpus repo=ROCm/rocFFT kind=compiled arch=gfx906 opt=O3
	.text
	.amdgcn_target "amdgcn-amd-amdhsa--gfx906"
	.amdhsa_code_object_version 6
	.protected	fft_rtc_fwd_len748_factors_17_4_11_wgs_204_tpt_68_halfLds_dp_ip_CI_unitstride_sbrr_C2R_dirReg ; -- Begin function fft_rtc_fwd_len748_factors_17_4_11_wgs_204_tpt_68_halfLds_dp_ip_CI_unitstride_sbrr_C2R_dirReg
	.globl	fft_rtc_fwd_len748_factors_17_4_11_wgs_204_tpt_68_halfLds_dp_ip_CI_unitstride_sbrr_C2R_dirReg
	.p2align	8
	.type	fft_rtc_fwd_len748_factors_17_4_11_wgs_204_tpt_68_halfLds_dp_ip_CI_unitstride_sbrr_C2R_dirReg,@function
fft_rtc_fwd_len748_factors_17_4_11_wgs_204_tpt_68_halfLds_dp_ip_CI_unitstride_sbrr_C2R_dirReg: ; @fft_rtc_fwd_len748_factors_17_4_11_wgs_204_tpt_68_halfLds_dp_ip_CI_unitstride_sbrr_C2R_dirReg
; %bb.0:
	s_load_dwordx2 s[2:3], s[4:5], 0x50
	s_load_dwordx4 s[8:11], s[4:5], 0x0
	s_load_dwordx2 s[12:13], s[4:5], 0x18
	v_mul_u32_u24_e32 v1, 0x3c4, v0
	v_lshrrev_b32_e32 v1, 16, v1
	v_mad_u64_u32 v[1:2], s[0:1], s6, 3, v[1:2]
	v_mov_b32_e32 v5, 0
	s_waitcnt lgkmcnt(0)
	v_cmp_lt_u64_e64 s[0:1], s[10:11], 2
	v_mov_b32_e32 v2, v5
	v_mov_b32_e32 v3, 0
	;; [unrolled: 1-line block ×3, first 2 shown]
	s_and_b64 vcc, exec, s[0:1]
	v_mov_b32_e32 v4, 0
	v_mov_b32_e32 v9, v1
	s_cbranch_vccnz .LBB0_8
; %bb.1:
	s_load_dwordx2 s[0:1], s[4:5], 0x10
	s_add_u32 s6, s12, 8
	s_addc_u32 s7, s13, 0
	v_mov_b32_e32 v3, 0
	v_mov_b32_e32 v8, v2
	s_waitcnt lgkmcnt(0)
	s_add_u32 s16, s0, 8
	s_mov_b64 s[14:15], 1
	v_mov_b32_e32 v4, 0
	s_addc_u32 s17, s1, 0
	v_mov_b32_e32 v7, v1
.LBB0_2:                                ; =>This Inner Loop Header: Depth=1
	s_load_dwordx2 s[18:19], s[16:17], 0x0
                                        ; implicit-def: $vgpr9_vgpr10
	s_waitcnt lgkmcnt(0)
	v_or_b32_e32 v6, s19, v8
	v_cmp_ne_u64_e32 vcc, 0, v[5:6]
	s_and_saveexec_b64 s[0:1], vcc
	s_xor_b64 s[20:21], exec, s[0:1]
	s_cbranch_execz .LBB0_4
; %bb.3:                                ;   in Loop: Header=BB0_2 Depth=1
	v_cvt_f32_u32_e32 v2, s18
	v_cvt_f32_u32_e32 v6, s19
	s_sub_u32 s0, 0, s18
	s_subb_u32 s1, 0, s19
	v_mac_f32_e32 v2, 0x4f800000, v6
	v_rcp_f32_e32 v2, v2
	v_mul_f32_e32 v2, 0x5f7ffffc, v2
	v_mul_f32_e32 v6, 0x2f800000, v2
	v_trunc_f32_e32 v6, v6
	v_mac_f32_e32 v2, 0xcf800000, v6
	v_cvt_u32_f32_e32 v6, v6
	v_cvt_u32_f32_e32 v2, v2
	v_mul_lo_u32 v9, s0, v6
	v_mul_hi_u32 v10, s0, v2
	v_mul_lo_u32 v12, s1, v2
	v_mul_lo_u32 v11, s0, v2
	v_add_u32_e32 v9, v10, v9
	v_add_u32_e32 v9, v9, v12
	v_mul_hi_u32 v10, v2, v11
	v_mul_lo_u32 v12, v2, v9
	v_mul_hi_u32 v14, v2, v9
	v_mul_hi_u32 v13, v6, v11
	v_mul_lo_u32 v11, v6, v11
	v_mul_hi_u32 v15, v6, v9
	v_add_co_u32_e32 v10, vcc, v10, v12
	v_addc_co_u32_e32 v12, vcc, 0, v14, vcc
	v_mul_lo_u32 v9, v6, v9
	v_add_co_u32_e32 v10, vcc, v10, v11
	v_addc_co_u32_e32 v10, vcc, v12, v13, vcc
	v_addc_co_u32_e32 v11, vcc, 0, v15, vcc
	v_add_co_u32_e32 v9, vcc, v10, v9
	v_addc_co_u32_e32 v10, vcc, 0, v11, vcc
	v_add_co_u32_e32 v2, vcc, v2, v9
	v_addc_co_u32_e32 v6, vcc, v6, v10, vcc
	v_mul_lo_u32 v9, s0, v6
	v_mul_hi_u32 v10, s0, v2
	v_mul_lo_u32 v11, s1, v2
	v_mul_lo_u32 v12, s0, v2
	v_add_u32_e32 v9, v10, v9
	v_add_u32_e32 v9, v9, v11
	v_mul_lo_u32 v13, v2, v9
	v_mul_hi_u32 v14, v2, v12
	v_mul_hi_u32 v15, v2, v9
	;; [unrolled: 1-line block ×3, first 2 shown]
	v_mul_lo_u32 v12, v6, v12
	v_mul_hi_u32 v10, v6, v9
	v_add_co_u32_e32 v13, vcc, v14, v13
	v_addc_co_u32_e32 v14, vcc, 0, v15, vcc
	v_mul_lo_u32 v9, v6, v9
	v_add_co_u32_e32 v12, vcc, v13, v12
	v_addc_co_u32_e32 v11, vcc, v14, v11, vcc
	v_addc_co_u32_e32 v10, vcc, 0, v10, vcc
	v_add_co_u32_e32 v9, vcc, v11, v9
	v_addc_co_u32_e32 v10, vcc, 0, v10, vcc
	v_add_co_u32_e32 v2, vcc, v2, v9
	v_addc_co_u32_e32 v6, vcc, v6, v10, vcc
	v_mad_u64_u32 v[9:10], s[0:1], v7, v6, 0
	v_mul_hi_u32 v11, v7, v2
	v_add_co_u32_e32 v13, vcc, v11, v9
	v_addc_co_u32_e32 v14, vcc, 0, v10, vcc
	v_mad_u64_u32 v[9:10], s[0:1], v8, v2, 0
	v_mad_u64_u32 v[11:12], s[0:1], v8, v6, 0
	v_add_co_u32_e32 v2, vcc, v13, v9
	v_addc_co_u32_e32 v2, vcc, v14, v10, vcc
	v_addc_co_u32_e32 v6, vcc, 0, v12, vcc
	v_add_co_u32_e32 v2, vcc, v2, v11
	v_addc_co_u32_e32 v6, vcc, 0, v6, vcc
	v_mul_lo_u32 v11, s19, v2
	v_mul_lo_u32 v12, s18, v6
	v_mad_u64_u32 v[9:10], s[0:1], s18, v2, 0
	v_add3_u32 v10, v10, v12, v11
	v_sub_u32_e32 v11, v8, v10
	v_mov_b32_e32 v12, s19
	v_sub_co_u32_e32 v9, vcc, v7, v9
	v_subb_co_u32_e64 v11, s[0:1], v11, v12, vcc
	v_subrev_co_u32_e64 v12, s[0:1], s18, v9
	v_subbrev_co_u32_e64 v11, s[0:1], 0, v11, s[0:1]
	v_cmp_le_u32_e64 s[0:1], s19, v11
	v_cndmask_b32_e64 v13, 0, -1, s[0:1]
	v_cmp_le_u32_e64 s[0:1], s18, v12
	v_cndmask_b32_e64 v12, 0, -1, s[0:1]
	v_cmp_eq_u32_e64 s[0:1], s19, v11
	v_cndmask_b32_e64 v11, v13, v12, s[0:1]
	v_add_co_u32_e64 v12, s[0:1], 2, v2
	v_addc_co_u32_e64 v13, s[0:1], 0, v6, s[0:1]
	v_add_co_u32_e64 v14, s[0:1], 1, v2
	v_addc_co_u32_e64 v15, s[0:1], 0, v6, s[0:1]
	v_subb_co_u32_e32 v10, vcc, v8, v10, vcc
	v_cmp_ne_u32_e64 s[0:1], 0, v11
	v_cmp_le_u32_e32 vcc, s19, v10
	v_cndmask_b32_e64 v11, v15, v13, s[0:1]
	v_cndmask_b32_e64 v13, 0, -1, vcc
	v_cmp_le_u32_e32 vcc, s18, v9
	v_cndmask_b32_e64 v9, 0, -1, vcc
	v_cmp_eq_u32_e32 vcc, s19, v10
	v_cndmask_b32_e32 v9, v13, v9, vcc
	v_cmp_ne_u32_e32 vcc, 0, v9
	v_cndmask_b32_e32 v10, v6, v11, vcc
	v_cndmask_b32_e64 v6, v14, v12, s[0:1]
	v_cndmask_b32_e32 v9, v2, v6, vcc
.LBB0_4:                                ;   in Loop: Header=BB0_2 Depth=1
	s_andn2_saveexec_b64 s[0:1], s[20:21]
	s_cbranch_execz .LBB0_6
; %bb.5:                                ;   in Loop: Header=BB0_2 Depth=1
	v_cvt_f32_u32_e32 v2, s18
	s_sub_i32 s20, 0, s18
	v_rcp_iflag_f32_e32 v2, v2
	v_mul_f32_e32 v2, 0x4f7ffffe, v2
	v_cvt_u32_f32_e32 v2, v2
	v_mul_lo_u32 v6, s20, v2
	v_mul_hi_u32 v6, v2, v6
	v_add_u32_e32 v2, v2, v6
	v_mul_hi_u32 v2, v7, v2
	v_mul_lo_u32 v6, v2, s18
	v_add_u32_e32 v9, 1, v2
	v_sub_u32_e32 v6, v7, v6
	v_subrev_u32_e32 v10, s18, v6
	v_cmp_le_u32_e32 vcc, s18, v6
	v_cndmask_b32_e32 v6, v6, v10, vcc
	v_cndmask_b32_e32 v2, v2, v9, vcc
	v_add_u32_e32 v9, 1, v2
	v_cmp_le_u32_e32 vcc, s18, v6
	v_cndmask_b32_e32 v9, v2, v9, vcc
	v_mov_b32_e32 v10, v5
.LBB0_6:                                ;   in Loop: Header=BB0_2 Depth=1
	s_or_b64 exec, exec, s[0:1]
	v_mul_lo_u32 v2, v10, s18
	v_mul_lo_u32 v6, v9, s19
	v_mad_u64_u32 v[11:12], s[0:1], v9, s18, 0
	s_load_dwordx2 s[0:1], s[6:7], 0x0
	s_add_u32 s14, s14, 1
	v_add3_u32 v2, v12, v6, v2
	v_sub_co_u32_e32 v6, vcc, v7, v11
	v_subb_co_u32_e32 v2, vcc, v8, v2, vcc
	s_waitcnt lgkmcnt(0)
	v_mul_lo_u32 v2, s0, v2
	v_mul_lo_u32 v7, s1, v6
	v_mad_u64_u32 v[3:4], s[0:1], s0, v6, v[3:4]
	s_addc_u32 s15, s15, 0
	s_add_u32 s6, s6, 8
	v_add3_u32 v4, v7, v4, v2
	v_mov_b32_e32 v6, s10
	v_mov_b32_e32 v7, s11
	s_addc_u32 s7, s7, 0
	v_cmp_ge_u64_e32 vcc, s[14:15], v[6:7]
	s_add_u32 s16, s16, 8
	s_addc_u32 s17, s17, 0
	s_cbranch_vccnz .LBB0_8
; %bb.7:                                ;   in Loop: Header=BB0_2 Depth=1
	v_mov_b32_e32 v7, v9
	v_mov_b32_e32 v8, v10
	s_branch .LBB0_2
.LBB0_8:
	s_lshl_b64 s[0:1], s[10:11], 3
	s_add_u32 s0, s12, s0
	s_addc_u32 s1, s13, s1
	s_load_dwordx2 s[0:1], s[0:1], 0x0
	s_mov_b32 s6, 0xaaaaaaab
	v_mul_hi_u32 v5, v1, s6
	s_waitcnt lgkmcnt(0)
	v_mul_lo_u32 v6, s0, v10
	v_mul_lo_u32 v7, s1, v9
	v_mad_u64_u32 v[2:3], s[0:1], s0, v9, v[3:4]
	s_load_dwordx2 s[0:1], s[4:5], 0x20
	s_mov_b32 s4, 0x3c3c3c4
	v_lshrrev_b32_e32 v4, 1, v5
	v_mul_hi_u32 v5, v0, s4
	v_lshl_add_u32 v4, v4, 1, v4
	v_add3_u32 v3, v7, v3, v6
	v_sub_u32_e32 v1, v1, v4
	v_mul_u32_u24_e32 v1, 0x2ed, v1
	s_waitcnt lgkmcnt(0)
	v_cmp_gt_u64_e64 s[0:1], s[0:1], v[9:10]
	v_mul_u32_u24_e32 v4, 0x44, v5
	v_lshlrev_b64 v[110:111], 4, v[2:3]
	v_sub_u32_e32 v108, v0, v4
	v_lshlrev_b32_e32 v218, 4, v1
	s_and_saveexec_b64 s[4:5], s[0:1]
	s_cbranch_execz .LBB0_12
; %bb.9:
	v_mov_b32_e32 v109, 0
	v_mov_b32_e32 v0, s3
	v_add_co_u32_e32 v2, vcc, s2, v110
	v_lshlrev_b64 v[3:4], 4, v[108:109]
	v_addc_co_u32_e32 v0, vcc, v0, v111, vcc
	v_add_co_u32_e32 v36, vcc, v2, v3
	v_addc_co_u32_e32 v37, vcc, v0, v4, vcc
	s_movk_i32 s6, 0x1000
	v_add_co_u32_e32 v38, vcc, s6, v36
	v_addc_co_u32_e32 v39, vcc, 0, v37, vcc
	v_add_co_u32_e32 v48, vcc, 0x2000, v36
	v_addc_co_u32_e32 v49, vcc, 0, v37, vcc
	global_load_dwordx4 v[4:7], v[36:37], off
	global_load_dwordx4 v[8:11], v[36:37], off offset:1088
	global_load_dwordx4 v[12:15], v[36:37], off offset:2176
	;; [unrolled: 1-line block ×7, first 2 shown]
	s_nop 0
	global_load_dwordx4 v[36:39], v[48:49], off offset:512
	global_load_dwordx4 v[40:43], v[48:49], off offset:1600
	;; [unrolled: 1-line block ×3, first 2 shown]
	v_lshlrev_b32_e32 v3, 4, v108
	s_movk_i32 s6, 0x43
	v_add3_u32 v3, 0, v218, v3
	v_cmp_eq_u32_e32 vcc, s6, v108
	s_waitcnt vmcnt(10)
	ds_write_b128 v3, v[4:7]
	s_waitcnt vmcnt(9)
	ds_write_b128 v3, v[8:11] offset:1088
	s_waitcnt vmcnt(8)
	ds_write_b128 v3, v[12:15] offset:2176
	;; [unrolled: 2-line block ×10, first 2 shown]
	s_and_saveexec_b64 s[6:7], vcc
	s_cbranch_execz .LBB0_11
; %bb.10:
	v_add_co_u32_e32 v4, vcc, 0x2000, v2
	v_addc_co_u32_e32 v5, vcc, 0, v0, vcc
	global_load_dwordx4 v[4:7], v[4:5], off offset:3776
	v_mov_b32_e32 v108, 0x43
	s_waitcnt vmcnt(0)
	ds_write_b128 v3, v[4:7] offset:10896
.LBB0_11:
	s_or_b64 exec, exec, s[6:7]
.LBB0_12:
	s_or_b64 exec, exec, s[4:5]
	v_lshl_add_u32 v216, v1, 4, 0
	v_lshlrev_b32_e32 v10, 4, v108
	v_add_u32_e32 v217, v216, v10
	s_waitcnt lgkmcnt(0)
	s_barrier
	v_sub_u32_e32 v11, v216, v10
	ds_read_b64 v[6:7], v217
	ds_read_b64 v[8:9], v11 offset:11968
	s_add_u32 s6, s8, 0x2db0
	s_addc_u32 s7, s9, 0
	v_cmp_ne_u32_e32 vcc, 0, v108
                                        ; implicit-def: $vgpr4_vgpr5
	s_waitcnt lgkmcnt(0)
	v_add_f64 v[0:1], v[6:7], v[8:9]
	v_add_f64 v[2:3], v[6:7], -v[8:9]
	s_and_saveexec_b64 s[4:5], vcc
	s_xor_b64 s[4:5], exec, s[4:5]
	s_cbranch_execz .LBB0_14
; %bb.13:
	v_mov_b32_e32 v109, 0
	v_lshlrev_b64 v[0:1], 4, v[108:109]
	v_mov_b32_e32 v2, s7
	v_add_co_u32_e32 v0, vcc, s6, v0
	v_addc_co_u32_e32 v1, vcc, v2, v1, vcc
	global_load_dwordx4 v[2:5], v[0:1], off
	ds_read_b64 v[0:1], v11 offset:11976
	ds_read_b64 v[12:13], v217 offset:8
	v_add_f64 v[14:15], v[6:7], v[8:9]
	v_add_f64 v[8:9], v[6:7], -v[8:9]
	s_waitcnt lgkmcnt(0)
	v_add_f64 v[16:17], v[0:1], v[12:13]
	v_add_f64 v[0:1], v[12:13], -v[0:1]
	s_waitcnt vmcnt(0)
	v_fma_f64 v[6:7], -v[8:9], v[4:5], v[14:15]
	v_fma_f64 v[12:13], v[16:17], v[4:5], -v[0:1]
	v_fma_f64 v[14:15], v[8:9], v[4:5], v[14:15]
	v_fma_f64 v[18:19], v[16:17], v[4:5], v[0:1]
	;; [unrolled: 1-line block ×4, first 2 shown]
	v_fma_f64 v[0:1], -v[16:17], v[2:3], v[14:15]
	v_fma_f64 v[2:3], v[8:9], v[2:3], v[18:19]
	ds_write_b128 v11, v[4:7] offset:11968
	v_mov_b32_e32 v4, v108
	v_mov_b32_e32 v5, v109
.LBB0_14:
	s_andn2_saveexec_b64 s[4:5], s[4:5]
	s_cbranch_execz .LBB0_16
; %bb.15:
	ds_read_b128 v[4:7], v216 offset:5984
	s_waitcnt lgkmcnt(0)
	v_add_f64 v[12:13], v[4:5], v[4:5]
	v_mul_f64 v[14:15], v[6:7], -2.0
	v_mov_b32_e32 v4, 0
	v_mov_b32_e32 v5, 0
	ds_write_b128 v216, v[12:15] offset:5984
.LBB0_16:
	s_or_b64 exec, exec, s[4:5]
	v_lshlrev_b64 v[4:5], 4, v[4:5]
	v_mov_b32_e32 v6, s7
	v_add_co_u32_e32 v24, vcc, s6, v4
	v_addc_co_u32_e32 v25, vcc, v6, v5, vcc
	global_load_dwordx4 v[4:7], v[24:25], off offset:1088
	global_load_dwordx4 v[12:15], v[24:25], off offset:2176
	ds_write_b128 v217, v[0:3]
	ds_read_b128 v[0:3], v217 offset:1088
	ds_read_b128 v[16:19], v11 offset:10880
	global_load_dwordx4 v[20:23], v[24:25], off offset:3264
	s_movk_i32 s4, 0x1000
	s_waitcnt lgkmcnt(0)
	v_add_f64 v[8:9], v[0:1], v[16:17]
	v_add_f64 v[26:27], v[18:19], v[2:3]
	v_add_f64 v[16:17], v[0:1], -v[16:17]
	v_add_f64 v[0:1], v[2:3], -v[18:19]
	s_waitcnt vmcnt(2)
	v_fma_f64 v[2:3], v[16:17], v[6:7], v[8:9]
	v_fma_f64 v[18:19], v[26:27], v[6:7], v[0:1]
	v_fma_f64 v[8:9], -v[16:17], v[6:7], v[8:9]
	v_fma_f64 v[28:29], v[26:27], v[6:7], -v[0:1]
	v_fma_f64 v[0:1], -v[26:27], v[4:5], v[2:3]
	v_fma_f64 v[2:3], v[16:17], v[4:5], v[18:19]
	v_fma_f64 v[6:7], v[26:27], v[4:5], v[8:9]
	;; [unrolled: 1-line block ×3, first 2 shown]
	ds_write_b128 v217, v[0:3] offset:1088
	ds_write_b128 v11, v[6:9] offset:10880
	v_add_co_u32_e32 v0, vcc, s4, v24
	v_addc_co_u32_e32 v1, vcc, 0, v25, vcc
	ds_read_b128 v[2:5], v217 offset:2176
	ds_read_b128 v[6:9], v11 offset:9792
	global_load_dwordx4 v[16:19], v[0:1], off offset:256
	v_cmp_gt_u32_e32 vcc, 34, v108
	s_waitcnt lgkmcnt(0)
	v_add_f64 v[24:25], v[2:3], v[6:7]
	v_add_f64 v[26:27], v[8:9], v[4:5]
	v_add_f64 v[28:29], v[2:3], -v[6:7]
	v_add_f64 v[2:3], v[4:5], -v[8:9]
	s_waitcnt vmcnt(2)
	v_fma_f64 v[4:5], v[28:29], v[14:15], v[24:25]
	v_fma_f64 v[6:7], v[26:27], v[14:15], v[2:3]
	v_fma_f64 v[8:9], -v[28:29], v[14:15], v[24:25]
	v_fma_f64 v[14:15], v[26:27], v[14:15], -v[2:3]
	v_fma_f64 v[2:3], -v[26:27], v[12:13], v[4:5]
	v_fma_f64 v[4:5], v[28:29], v[12:13], v[6:7]
	v_fma_f64 v[6:7], v[26:27], v[12:13], v[8:9]
	v_fma_f64 v[8:9], v[28:29], v[12:13], v[14:15]
	ds_write_b128 v217, v[2:5] offset:2176
	ds_write_b128 v11, v[6:9] offset:9792
	ds_read_b128 v[2:5], v217 offset:3264
	ds_read_b128 v[6:9], v11 offset:8704
	s_waitcnt lgkmcnt(0)
	v_add_f64 v[12:13], v[2:3], v[6:7]
	v_add_f64 v[14:15], v[8:9], v[4:5]
	v_add_f64 v[24:25], v[2:3], -v[6:7]
	v_add_f64 v[2:3], v[4:5], -v[8:9]
	s_waitcnt vmcnt(1)
	v_fma_f64 v[4:5], v[24:25], v[22:23], v[12:13]
	v_fma_f64 v[6:7], v[14:15], v[22:23], v[2:3]
	v_fma_f64 v[8:9], -v[24:25], v[22:23], v[12:13]
	v_fma_f64 v[12:13], v[14:15], v[22:23], -v[2:3]
	v_fma_f64 v[2:3], -v[14:15], v[20:21], v[4:5]
	v_fma_f64 v[4:5], v[24:25], v[20:21], v[6:7]
	v_fma_f64 v[6:7], v[14:15], v[20:21], v[8:9]
	;; [unrolled: 1-line block ×3, first 2 shown]
	ds_write_b128 v217, v[2:5] offset:3264
	ds_write_b128 v11, v[6:9] offset:8704
	ds_read_b128 v[2:5], v217 offset:4352
	ds_read_b128 v[6:9], v11 offset:7616
	s_waitcnt lgkmcnt(0)
	v_add_f64 v[12:13], v[2:3], v[6:7]
	v_add_f64 v[14:15], v[8:9], v[4:5]
	v_add_f64 v[20:21], v[2:3], -v[6:7]
	v_add_f64 v[2:3], v[4:5], -v[8:9]
	s_waitcnt vmcnt(0)
	v_fma_f64 v[4:5], v[20:21], v[18:19], v[12:13]
	v_fma_f64 v[6:7], v[14:15], v[18:19], v[2:3]
	v_fma_f64 v[8:9], -v[20:21], v[18:19], v[12:13]
	v_fma_f64 v[12:13], v[14:15], v[18:19], -v[2:3]
	v_fma_f64 v[2:3], -v[14:15], v[16:17], v[4:5]
	v_fma_f64 v[4:5], v[20:21], v[16:17], v[6:7]
	v_fma_f64 v[6:7], v[14:15], v[16:17], v[8:9]
	;; [unrolled: 1-line block ×3, first 2 shown]
	ds_write_b128 v217, v[2:5] offset:4352
	ds_write_b128 v11, v[6:9] offset:7616
	s_and_saveexec_b64 s[4:5], vcc
	s_cbranch_execz .LBB0_18
; %bb.17:
	global_load_dwordx4 v[0:3], v[0:1], off offset:1344
	ds_read_b128 v[4:7], v217 offset:5440
	ds_read_b128 v[12:15], v11 offset:6528
	s_waitcnt lgkmcnt(0)
	v_add_f64 v[8:9], v[4:5], v[12:13]
	v_add_f64 v[16:17], v[14:15], v[6:7]
	v_add_f64 v[12:13], v[4:5], -v[12:13]
	v_add_f64 v[4:5], v[6:7], -v[14:15]
	s_waitcnt vmcnt(0)
	v_fma_f64 v[6:7], v[12:13], v[2:3], v[8:9]
	v_fma_f64 v[14:15], v[16:17], v[2:3], v[4:5]
	v_fma_f64 v[8:9], -v[12:13], v[2:3], v[8:9]
	v_fma_f64 v[18:19], v[16:17], v[2:3], -v[4:5]
	v_fma_f64 v[2:3], -v[16:17], v[0:1], v[6:7]
	v_fma_f64 v[4:5], v[12:13], v[0:1], v[14:15]
	v_fma_f64 v[6:7], v[16:17], v[0:1], v[8:9]
	;; [unrolled: 1-line block ×3, first 2 shown]
	ds_write_b128 v217, v[2:5] offset:5440
	ds_write_b128 v11, v[6:9] offset:6528
.LBB0_18:
	s_or_b64 exec, exec, s[4:5]
	v_add3_u32 v109, 0, v10, v218
	s_waitcnt lgkmcnt(0)
	s_barrier
	s_barrier
	ds_read_b128 v[0:3], v109 offset:11264
	ds_read_b128 v[24:27], v109 offset:704
	ds_read_b128 v[28:31], v217
	ds_read_b128 v[16:19], v109 offset:10560
	ds_read_b128 v[36:39], v109 offset:1408
	s_mov_b32 s4, 0x6c9a05f6
	s_waitcnt lgkmcnt(3)
	v_add_f64 v[114:115], v[26:27], -v[2:3]
	s_mov_b32 s5, 0xbfe9895b
	v_add_f64 v[112:113], v[24:25], v[0:1]
	s_waitcnt lgkmcnt(0)
	v_add_f64 v[118:119], v[38:39], -v[18:19]
	v_add_f64 v[120:121], v[24:25], -v[0:1]
	s_mov_b32 s6, 0x6ed5f1bb
	s_mov_b32 s14, 0x923c349f
	;; [unrolled: 1-line block ×3, first 2 shown]
	v_mul_f64 v[84:85], v[114:115], s[4:5]
	s_mov_b32 s15, 0x3feec746
	v_add_f64 v[116:117], v[36:37], v[16:17]
	v_mul_f64 v[86:87], v[118:119], s[14:15]
	v_add_f64 v[144:145], v[26:27], v[2:3]
	v_mul_f64 v[94:95], v[120:121], s[4:5]
	v_add_f64 v[122:123], v[36:37], -v[16:17]
	ds_read_b128 v[40:43], v109 offset:2112
	ds_read_b128 v[32:35], v109 offset:9856
	v_fma_f64 v[4:5], v[112:113], s[6:7], v[84:85]
	s_mov_b32 s10, 0xc61f0d01
	s_mov_b32 s11, 0xbfd183b1
	v_fma_f64 v[6:7], v[116:117], s[10:11], v[86:87]
	s_waitcnt lgkmcnt(0)
	v_add_f64 v[126:127], v[42:43], -v[34:35]
	v_fma_f64 v[8:9], v[144:145], s[6:7], -v[94:95]
	v_add_f64 v[146:147], v[38:39], v[18:19]
	v_mul_f64 v[90:91], v[122:123], s[14:15]
	v_add_f64 v[4:5], v[28:29], v[4:5]
	v_add_f64 v[128:129], v[40:41], -v[32:33]
	ds_read_b128 v[44:47], v109 offset:9152
	ds_read_b128 v[48:51], v109 offset:2816
	s_mov_b32 s24, 0x5d8e7cdc
	s_mov_b32 s25, 0x3fd71e95
	;; [unrolled: 1-line block ×4, first 2 shown]
	v_add_f64 v[124:125], v[40:41], v[32:33]
	v_mul_f64 v[88:89], v[126:127], s[12:13]
	v_add_f64 v[4:5], v[6:7], v[4:5]
	v_add_f64 v[6:7], v[30:31], v[8:9]
	v_fma_f64 v[8:9], v[146:147], s[10:11], -v[90:91]
	v_add_f64 v[130:131], v[42:43], v[34:35]
	v_mul_f64 v[92:93], v[128:129], s[12:13]
	s_waitcnt lgkmcnt(0)
	v_add_f64 v[140:141], v[50:51], -v[46:47]
	v_add_f64 v[134:135], v[48:49], -v[44:45]
	ds_read_b128 v[56:59], v109 offset:3520
	ds_read_b128 v[52:55], v109 offset:8448
	s_mov_b32 s16, 0x370991
	s_mov_b32 s18, 0x4363dd80
	;; [unrolled: 1-line block ×4, first 2 shown]
	v_fma_f64 v[10:11], v[124:125], s[16:17], v[88:89]
	v_add_f64 v[6:7], v[8:9], v[6:7]
	v_fma_f64 v[8:9], v[130:131], s[16:17], -v[92:93]
	v_add_f64 v[132:133], v[48:49], v[44:45]
	v_mul_f64 v[96:97], v[140:141], s[18:19]
	v_add_f64 v[150:151], v[50:51], v[46:47]
	v_mul_f64 v[98:99], v[134:135], s[18:19]
	s_waitcnt lgkmcnt(0)
	v_add_f64 v[142:143], v[58:59], -v[54:55]
	v_add_f64 v[138:139], v[56:57], -v[52:53]
	ds_read_b128 v[60:63], v109 offset:7744
	ds_read_b128 v[68:71], v109 offset:4224
	s_mov_b32 s20, 0x910ea3b9
	s_mov_b32 s22, 0xeb564b22
	;; [unrolled: 1-line block ×6, first 2 shown]
	v_add_f64 v[4:5], v[10:11], v[4:5]
	v_add_f64 v[6:7], v[8:9], v[6:7]
	v_fma_f64 v[8:9], v[132:133], s[20:21], v[96:97]
	v_fma_f64 v[10:11], v[150:151], s[20:21], -v[98:99]
	v_add_f64 v[136:137], v[56:57], v[52:53]
	v_mul_f64 v[100:101], v[142:143], s[28:29]
	v_add_f64 v[154:155], v[58:59], v[54:55]
	v_mul_f64 v[102:103], v[138:139], s[28:29]
	s_waitcnt lgkmcnt(0)
	v_add_f64 v[156:157], v[70:71], -v[62:63]
	s_mov_b32 s26, 0x3259b75e
	s_mov_b32 s36, 0x2a9d6da3
	;; [unrolled: 1-line block ×6, first 2 shown]
	v_add_f64 v[4:5], v[8:9], v[4:5]
	v_add_f64 v[6:7], v[10:11], v[6:7]
	v_fma_f64 v[8:9], v[136:137], s[26:27], v[100:101]
	v_fma_f64 v[10:11], v[154:155], s[26:27], -v[102:103]
	v_add_f64 v[148:149], v[68:69], v[60:61]
	v_mul_f64 v[104:105], v[156:157], s[30:31]
	v_add_f64 v[152:153], v[68:69], -v[60:61]
	v_mul_f64 v[198:199], v[114:115], s[18:19]
	v_mul_f64 v[212:213], v[120:121], s[18:19]
	s_mov_b32 s40, 0x75d4884
	s_mov_b32 s44, 0x7c9e640b
	;; [unrolled: 1-line block ×4, first 2 shown]
	v_add_f64 v[4:5], v[8:9], v[4:5]
	v_add_f64 v[6:7], v[10:11], v[6:7]
	v_fma_f64 v[8:9], v[148:149], s[40:41], v[104:105]
	v_add_f64 v[166:167], v[70:71], v[62:63]
	v_mul_f64 v[106:107], v[152:153], s[30:31]
	v_fma_f64 v[10:11], v[112:113], s[20:21], v[198:199]
	v_mul_f64 v[200:201], v[118:119], s[44:45]
	v_fma_f64 v[12:13], v[144:145], s[20:21], -v[212:213]
	v_mul_f64 v[210:211], v[122:123], s[44:45]
	s_mov_b32 s42, 0x2b2883cd
	s_mov_b32 s43, 0x3fdc86fa
	v_add_f64 v[4:5], v[8:9], v[4:5]
	v_fma_f64 v[8:9], v[166:167], s[40:41], -v[106:107]
	v_add_f64 v[10:11], v[28:29], v[10:11]
	v_fma_f64 v[14:15], v[116:117], s[42:43], v[200:201]
	v_add_f64 v[12:13], v[30:31], v[12:13]
	v_fma_f64 v[20:21], v[146:147], s[42:43], -v[210:211]
	v_mul_f64 v[202:203], v[126:127], s[22:23]
	v_mul_f64 v[208:209], v[128:129], s[22:23]
	s_mov_b32 s47, 0x3fe9895b
	s_mov_b32 s46, s4
	v_add_f64 v[6:7], v[8:9], v[6:7]
	v_add_f64 v[8:9], v[14:15], v[10:11]
	v_mul_f64 v[182:183], v[140:141], s[46:47]
	v_add_f64 v[10:11], v[20:21], v[12:13]
	v_fma_f64 v[12:13], v[124:125], s[26:27], v[202:203]
	v_fma_f64 v[14:15], v[130:131], s[26:27], -v[208:209]
	v_mul_f64 v[214:215], v[134:135], s[46:47]
	ds_read_b128 v[72:75], v109 offset:4928
	ds_read_b128 v[64:67], v109 offset:7040
	v_mul_f64 v[184:185], v[142:143], s[12:13]
	v_mul_f64 v[188:189], v[138:139], s[12:13]
	s_mov_b32 s34, 0xacd6c6b4
	s_mov_b32 s35, 0xbfc7851a
	s_waitcnt lgkmcnt(0)
	v_add_f64 v[168:169], v[74:75], -v[66:67]
	v_add_f64 v[8:9], v[12:13], v[8:9]
	v_add_f64 v[10:11], v[14:15], v[10:11]
	v_fma_f64 v[12:13], v[132:133], s[6:7], v[182:183]
	v_fma_f64 v[14:15], v[150:151], s[6:7], -v[214:215]
	v_add_f64 v[158:159], v[72:73], v[64:65]
	v_add_f64 v[160:161], v[72:73], -v[64:65]
	v_mul_f64 v[190:191], v[156:157], s[34:35]
	v_mul_f64 v[176:177], v[168:169], s[34:35]
	;; [unrolled: 1-line block ×3, first 2 shown]
	s_mov_b32 s38, 0x7faef3
	v_add_f64 v[8:9], v[12:13], v[8:9]
	v_add_f64 v[10:11], v[14:15], v[10:11]
	v_fma_f64 v[12:13], v[136:137], s[16:17], v[184:185]
	v_fma_f64 v[14:15], v[154:155], s[16:17], -v[188:189]
	s_mov_b32 s39, 0xbfef7484
	v_add_f64 v[170:171], v[74:75], v[66:67]
	v_fma_f64 v[20:21], v[158:159], s[38:39], v[176:177]
	v_mul_f64 v[194:195], v[168:169], s[36:37]
	v_mul_f64 v[196:197], v[160:161], s[36:37]
	;; [unrolled: 1-line block ×3, first 2 shown]
	v_add_f64 v[8:9], v[12:13], v[8:9]
	v_add_f64 v[10:11], v[14:15], v[10:11]
	v_fma_f64 v[12:13], v[148:149], s[38:39], v[190:191]
	v_fma_f64 v[14:15], v[166:167], s[38:39], -v[192:193]
	v_add_f64 v[4:5], v[20:21], v[4:5]
	v_mul_f64 v[20:21], v[114:115], s[34:35]
	v_mul_f64 v[225:226], v[122:123], s[24:25]
	v_fma_f64 v[223:224], v[144:145], s[38:39], v[219:220]
	v_fma_f64 v[219:220], v[144:145], s[38:39], -v[219:220]
	v_mul_f64 v[231:232], v[126:127], s[18:19]
	v_add_f64 v[8:9], v[12:13], v[8:9]
	v_add_f64 v[10:11], v[14:15], v[10:11]
	v_fma_f64 v[12:13], v[158:159], s[40:41], v[194:195]
	v_fma_f64 v[14:15], v[170:171], s[40:41], -v[196:197]
	v_fma_f64 v[229:230], v[146:147], s[16:17], v[225:226]
	v_add_f64 v[223:224], v[30:31], v[223:224]
	v_mul_f64 v[233:234], v[128:129], s[18:19]
	v_add_f64 v[219:220], v[30:31], v[219:220]
	v_fma_f64 v[225:226], v[146:147], s[16:17], -v[225:226]
	v_mul_f64 v[235:236], v[140:141], s[36:37]
	v_add_f64 v[8:9], v[12:13], v[8:9]
	v_add_f64 v[10:11], v[14:15], v[10:11]
	v_fma_f64 v[12:13], v[112:113], s[38:39], -v[20:21]
	v_mul_f64 v[14:15], v[118:119], s[24:25]
	v_fma_f64 v[20:21], v[112:113], s[38:39], v[20:21]
	v_add_f64 v[223:224], v[229:230], v[223:224]
	v_fma_f64 v[229:230], v[130:131], s[20:21], v[233:234]
	v_mul_f64 v[237:238], v[134:135], s[36:37]
	ds_read_b128 v[80:83], v109 offset:5632
	ds_read_b128 v[76:79], v109 offset:6336
	s_mov_b32 s51, 0xbfeec746
	v_add_f64 v[12:13], v[28:29], v[12:13]
	v_fma_f64 v[227:228], v[116:117], s[16:17], -v[14:15]
	v_add_f64 v[20:21], v[28:29], v[20:21]
	v_fma_f64 v[14:15], v[116:117], s[16:17], v[14:15]
	v_add_f64 v[223:224], v[229:230], v[223:224]
	v_fma_f64 v[229:230], v[150:151], s[40:41], v[237:238]
	s_mov_b32 s50, s14
	v_mul_f64 v[178:179], v[160:161], s[34:35]
	s_waitcnt lgkmcnt(0)
	v_add_f64 v[172:173], v[82:83], -v[78:79]
	v_add_f64 v[12:13], v[227:228], v[12:13]
	v_fma_f64 v[227:228], v[124:125], s[20:21], -v[231:232]
	v_add_f64 v[14:15], v[14:15], v[20:21]
	v_add_f64 v[20:21], v[225:226], v[219:220]
	v_fma_f64 v[219:220], v[124:125], s[20:21], v[231:232]
	v_fma_f64 v[225:226], v[130:131], s[20:21], -v[233:234]
	v_mul_f64 v[231:232], v[142:143], s[4:5]
	v_mul_f64 v[233:234], v[138:139], s[4:5]
	v_add_f64 v[223:224], v[229:230], v[223:224]
	v_add_f64 v[12:13], v[227:228], v[12:13]
	v_fma_f64 v[227:228], v[132:133], s[40:41], -v[235:236]
	v_add_f64 v[162:163], v[80:81], -v[76:77]
	v_add_f64 v[14:15], v[219:220], v[14:15]
	v_add_f64 v[20:21], v[225:226], v[20:21]
	v_fma_f64 v[219:220], v[132:133], s[40:41], v[235:236]
	v_fma_f64 v[225:226], v[150:151], s[40:41], -v[237:238]
	v_fma_f64 v[229:230], v[154:155], s[6:7], v[233:234]
	v_mul_f64 v[235:236], v[156:157], s[44:45]
	v_add_f64 v[12:13], v[227:228], v[12:13]
	v_fma_f64 v[227:228], v[136:137], s[6:7], -v[231:232]
	v_mul_f64 v[237:238], v[152:153], s[44:45]
	v_fma_f64 v[22:23], v[170:171], s[38:39], -v[178:179]
	v_add_f64 v[14:15], v[219:220], v[14:15]
	v_add_f64 v[20:21], v[225:226], v[20:21]
	v_fma_f64 v[219:220], v[136:137], s[6:7], v[231:232]
	v_fma_f64 v[225:226], v[154:155], s[6:7], -v[233:234]
	v_add_f64 v[223:224], v[229:230], v[223:224]
	v_add_f64 v[12:13], v[227:228], v[12:13]
	v_fma_f64 v[227:228], v[148:149], s[42:43], -v[235:236]
	v_fma_f64 v[229:230], v[166:167], s[42:43], v[237:238]
	v_mul_f64 v[231:232], v[168:169], s[50:51]
	v_mul_f64 v[233:234], v[160:161], s[50:51]
	v_add_f64 v[14:15], v[219:220], v[14:15]
	v_add_f64 v[20:21], v[225:226], v[20:21]
	v_fma_f64 v[219:220], v[148:149], s[42:43], v[235:236]
	v_fma_f64 v[225:226], v[166:167], s[42:43], -v[237:238]
	v_add_f64 v[164:165], v[80:81], v[76:77]
	v_mul_f64 v[180:181], v[172:173], s[44:45]
	v_add_f64 v[174:175], v[82:83], v[78:79]
	v_mul_f64 v[186:187], v[162:163], s[44:45]
	v_mul_f64 v[204:205], v[172:173], s[50:51]
	;; [unrolled: 1-line block ×3, first 2 shown]
	v_add_f64 v[12:13], v[227:228], v[12:13]
	v_add_f64 v[223:224], v[229:230], v[223:224]
	v_fma_f64 v[227:228], v[158:159], s[10:11], -v[231:232]
	v_fma_f64 v[229:230], v[170:171], s[10:11], v[233:234]
	v_mul_f64 v[235:236], v[172:173], s[28:29]
	v_mul_f64 v[237:238], v[162:163], s[28:29]
	v_add_f64 v[14:15], v[219:220], v[14:15]
	v_add_f64 v[20:21], v[225:226], v[20:21]
	v_fma_f64 v[219:220], v[158:159], s[10:11], v[231:232]
	v_fma_f64 v[225:226], v[170:171], s[10:11], -v[233:234]
	v_add_f64 v[6:7], v[22:23], v[6:7]
	v_fma_f64 v[22:23], v[164:165], s[42:43], v[180:181]
	v_fma_f64 v[221:222], v[174:175], s[42:43], -v[186:187]
	v_fma_f64 v[231:232], v[164:165], s[10:11], v[204:205]
	v_fma_f64 v[233:234], v[174:175], s[10:11], -v[206:207]
	v_add_f64 v[227:228], v[227:228], v[12:13]
	v_add_f64 v[223:224], v[229:230], v[223:224]
	v_fma_f64 v[229:230], v[164:165], s[26:27], -v[235:236]
	v_fma_f64 v[239:240], v[174:175], s[26:27], v[237:238]
	v_add_f64 v[219:220], v[219:220], v[14:15]
	v_add_f64 v[225:226], v[225:226], v[20:21]
	v_fma_f64 v[235:236], v[164:165], s[26:27], v[235:236]
	v_fma_f64 v[237:238], v[174:175], s[26:27], -v[237:238]
	v_add_f64 v[20:21], v[22:23], v[4:5]
	v_add_f64 v[22:23], v[221:222], v[6:7]
	;; [unrolled: 1-line block ×8, first 2 shown]
	v_cmp_gt_u32_e32 vcc, 44, v108
	s_barrier
	s_and_saveexec_b64 s[48:49], vcc
	s_cbranch_execz .LBB0_20
; %bb.19:
	v_mul_f64 v[223:224], v[144:145], s[20:21]
	v_mul_f64 v[225:226], v[112:113], s[20:21]
	;; [unrolled: 1-line block ×8, first 2 shown]
	v_add_f64 v[212:213], v[212:213], v[223:224]
	v_add_f64 v[198:199], v[225:226], -v[198:199]
	v_mul_f64 v[223:224], v[124:125], s[26:27]
	v_add_f64 v[200:201], v[231:232], -v[200:201]
	v_add_f64 v[210:211], v[210:211], v[233:234]
	v_add_f64 v[94:95], v[94:95], v[221:222]
	v_mul_f64 v[227:228], v[116:117], s[10:11]
	v_mul_f64 v[237:238], v[130:131], s[16:17]
	v_add_f64 v[212:213], v[30:31], v[212:213]
	v_add_f64 v[198:199], v[28:29], v[198:199]
	v_mul_f64 v[243:244], v[150:151], s[6:7]
	v_mul_f64 v[247:248], v[132:133], s[6:7]
	v_add_f64 v[208:209], v[208:209], v[239:240]
	v_add_f64 v[202:203], v[223:224], -v[202:203]
	v_add_f64 v[84:85], v[219:220], -v[84:85]
	v_add_f64 v[90:91], v[90:91], v[229:230]
	v_add_f64 v[210:211], v[210:211], v[212:213]
	;; [unrolled: 1-line block ×4, first 2 shown]
	v_mul_f64 v[235:236], v[124:125], s[16:17]
	v_mul_f64 v[245:246], v[150:151], s[20:21]
	v_add_f64 v[214:215], v[214:215], v[243:244]
	v_mul_f64 v[243:244], v[136:137], s[16:17]
	v_mul_f64 v[239:240], v[154:155], s[16:17]
	v_add_f64 v[86:87], v[227:228], -v[86:87]
	v_add_f64 v[208:209], v[208:209], v[210:211]
	v_add_f64 v[84:85], v[28:29], v[84:85]
	v_add_f64 v[182:183], v[247:248], -v[182:183]
	v_add_f64 v[198:199], v[202:203], v[198:199]
	v_add_f64 v[92:93], v[92:93], v[237:238]
	;; [unrolled: 1-line block ×3, first 2 shown]
	v_mul_f64 v[241:242], v[132:133], s[20:21]
	v_mul_f64 v[225:226], v[154:155], s[26:27]
	;; [unrolled: 1-line block ×4, first 2 shown]
	v_add_f64 v[88:89], v[235:236], -v[88:89]
	v_add_f64 v[84:85], v[86:87], v[84:85]
	v_add_f64 v[86:87], v[188:189], v[239:240]
	;; [unrolled: 1-line block ×3, first 2 shown]
	v_add_f64 v[184:185], v[243:244], -v[184:185]
	v_add_f64 v[182:183], v[182:183], v[198:199]
	v_add_f64 v[98:99], v[98:99], v[245:246]
	;; [unrolled: 1-line block ×3, first 2 shown]
	v_mul_f64 v[231:232], v[166:167], s[40:41]
	v_mul_f64 v[229:230], v[158:159], s[40:41]
	v_add_f64 v[92:93], v[241:242], -v[96:97]
	v_add_f64 v[84:85], v[88:89], v[84:85]
	v_add_f64 v[88:89], v[192:193], v[221:222]
	v_add_f64 v[86:87], v[86:87], v[94:95]
	v_add_f64 v[94:95], v[223:224], -v[190:191]
	v_add_f64 v[96:97], v[184:185], v[182:183]
	v_add_f64 v[102:103], v[102:103], v[225:226]
	;; [unrolled: 1-line block ×3, first 2 shown]
	v_mul_f64 v[200:201], v[170:171], s[38:39]
	v_mul_f64 v[233:234], v[136:137], s[26:27]
	;; [unrolled: 1-line block ×3, first 2 shown]
	v_add_f64 v[86:87], v[88:89], v[86:87]
	v_add_f64 v[88:89], v[229:230], -v[194:195]
	v_add_f64 v[94:95], v[94:95], v[96:97]
	v_add_f64 v[96:97], v[106:107], v[231:232]
	;; [unrolled: 1-line block ×3, first 2 shown]
	v_mul_f64 v[212:213], v[148:149], s[40:41]
	v_mul_f64 v[202:203], v[164:165], s[10:11]
	v_add_f64 v[98:99], v[233:234], -v[100:101]
	v_add_f64 v[84:85], v[92:93], v[84:85]
	v_add_f64 v[92:93], v[196:197], v[227:228]
	;; [unrolled: 1-line block ×5, first 2 shown]
	v_mul_f64 v[210:211], v[164:165], s[42:43]
	v_mul_f64 v[247:248], v[174:175], s[42:43]
	v_add_f64 v[100:101], v[212:213], -v[104:105]
	v_add_f64 v[84:85], v[98:99], v[84:85]
	v_add_f64 v[86:87], v[92:93], v[86:87]
	v_add_f64 v[92:93], v[202:203], -v[204:205]
	v_mul_f64 v[104:105], v[114:115], s[50:51]
	v_add_f64 v[90:91], v[94:95], v[90:91]
	v_mul_f64 v[94:95], v[144:145], s[10:11]
	v_mul_f64 v[106:107], v[146:147], s[20:21]
	s_mov_b32 s55, 0x3fe0d888
	s_mov_b32 s54, s18
	v_mul_f64 v[219:220], v[158:159], s[38:39]
	v_add_f64 v[100:101], v[100:101], v[84:85]
	v_add_f64 v[84:85], v[92:93], v[88:89]
	;; [unrolled: 1-line block ×3, first 2 shown]
	v_fma_f64 v[178:179], v[120:121], s[14:15], v[94:95]
	v_add_f64 v[92:93], v[210:211], -v[180:181]
	v_mul_f64 v[180:181], v[130:131], s[40:41]
	v_mul_f64 v[182:183], v[118:119], s[54:55]
	v_fma_f64 v[184:185], v[112:113], s[10:11], v[104:105]
	v_fma_f64 v[186:187], v[122:123], s[18:19], v[106:107]
	;; [unrolled: 1-line block ×3, first 2 shown]
	v_add_f64 v[96:97], v[219:220], -v[176:177]
	v_add_f64 v[178:179], v[30:31], v[178:179]
	v_mul_f64 v[176:177], v[150:151], s[42:43]
	v_fma_f64 v[190:191], v[128:129], s[30:31], v[180:181]
	v_mul_f64 v[192:193], v[126:127], s[36:37]
	v_fma_f64 v[194:195], v[116:117], s[20:21], v[182:183]
	v_add_f64 v[184:185], v[28:29], v[184:185]
	v_fma_f64 v[106:107], v[122:123], s[54:55], v[106:107]
	v_add_f64 v[94:95], v[30:31], v[94:95]
	v_add_f64 v[178:179], v[186:187], v[178:179]
	s_mov_b32 s57, 0xbfeca52d
	s_mov_b32 s56, s44
	v_mul_f64 v[102:103], v[154:155], s[38:39]
	v_fma_f64 v[188:189], v[134:135], s[44:45], v[176:177]
	v_mul_f64 v[186:187], v[140:141], s[56:57]
	v_fma_f64 v[196:197], v[124:125], s[40:41], v[192:193]
	v_add_f64 v[184:185], v[194:195], v[184:185]
	v_fma_f64 v[180:181], v[128:129], s[36:37], v[180:181]
	v_add_f64 v[94:95], v[106:107], v[94:95]
	v_add_f64 v[106:107], v[190:191], v[178:179]
	s_mov_b32 s53, 0x3fc7851a
	s_mov_b32 s52, s34
	v_mul_f64 v[237:238], v[174:175], s[10:11]
	v_add_f64 v[96:97], v[96:97], v[100:101]
	v_mul_f64 v[100:101], v[166:167], s[26:27]
	v_fma_f64 v[178:179], v[138:139], s[52:53], v[102:103]
	v_mul_f64 v[190:191], v[142:143], s[34:35]
	v_fma_f64 v[194:195], v[132:133], s[42:43], v[186:187]
	v_add_f64 v[184:185], v[196:197], v[184:185]
	v_fma_f64 v[176:177], v[134:135], s[56:57], v[176:177]
	v_add_f64 v[94:95], v[180:181], v[94:95]
	v_add_f64 v[106:107], v[188:189], v[106:107]
	;; [unrolled: 1-line block ×3, first 2 shown]
	v_mul_f64 v[180:181], v[170:171], s[16:17]
	v_fma_f64 v[188:189], v[152:153], s[22:23], v[100:101]
	v_mul_f64 v[196:197], v[156:157], s[28:29]
	v_fma_f64 v[198:199], v[136:137], s[38:39], v[190:191]
	v_add_f64 v[184:185], v[194:195], v[184:185]
	v_fma_f64 v[102:103], v[138:139], s[34:35], v[102:103]
	v_add_f64 v[94:95], v[176:177], v[94:95]
	v_add_f64 v[106:107], v[178:179], v[106:107]
	v_fma_f64 v[104:105], v[112:113], s[10:11], -v[104:105]
	v_add_f64 v[86:87], v[98:99], v[86:87]
	v_mul_f64 v[98:99], v[174:175], s[6:7]
	v_fma_f64 v[176:177], v[160:161], s[24:25], v[180:181]
	v_mul_f64 v[178:179], v[168:169], s[12:13]
	v_fma_f64 v[194:195], v[148:149], s[26:27], v[196:197]
	v_add_f64 v[184:185], v[198:199], v[184:185]
	v_fma_f64 v[100:101], v[152:153], s[28:29], v[100:101]
	v_add_f64 v[94:95], v[102:103], v[94:95]
	v_add_f64 v[102:103], v[188:189], v[106:107]
	v_fma_f64 v[182:183], v[116:117], s[20:21], -v[182:183]
	v_add_f64 v[104:105], v[28:29], v[104:105]
	v_mul_f64 v[106:107], v[172:173], s[4:5]
	v_fma_f64 v[188:189], v[158:159], s[16:17], v[178:179]
	v_add_f64 v[184:185], v[194:195], v[184:185]
	v_fma_f64 v[180:181], v[160:161], s[12:13], v[180:181]
	v_add_f64 v[94:95], v[100:101], v[94:95]
	;; [unrolled: 2-line block ×3, first 2 shown]
	v_fma_f64 v[192:193], v[124:125], s[40:41], -v[192:193]
	v_add_f64 v[104:105], v[182:183], v[104:105]
	v_fma_f64 v[176:177], v[164:165], s[6:7], v[106:107]
	v_add_f64 v[182:183], v[188:189], v[184:185]
	v_fma_f64 v[98:99], v[162:163], s[4:5], v[98:99]
	v_add_f64 v[180:181], v[180:181], v[94:95]
	v_add_f64 v[94:95], v[88:89], v[90:91]
	;; [unrolled: 1-line block ×3, first 2 shown]
	v_fma_f64 v[96:97], v[132:133], s[42:43], -v[186:187]
	v_mul_f64 v[184:185], v[144:145], s[26:27]
	v_add_f64 v[104:105], v[192:193], v[104:105]
	v_add_f64 v[90:91], v[100:101], v[102:103]
	v_mul_f64 v[100:101], v[114:115], s[22:23]
	v_add_f64 v[88:89], v[176:177], v[182:183]
	v_add_f64 v[98:99], v[98:99], v[180:181]
	v_fma_f64 v[102:103], v[136:137], s[38:39], -v[190:191]
	v_mul_f64 v[176:177], v[146:147], s[38:39]
	v_fma_f64 v[180:181], v[120:121], s[28:29], v[184:185]
	v_add_f64 v[96:97], v[96:97], v[104:105]
	v_mul_f64 v[182:183], v[118:119], s[34:35]
	v_fma_f64 v[186:187], v[112:113], s[26:27], v[100:101]
	v_fma_f64 v[104:105], v[164:165], s[6:7], -v[106:107]
	v_fma_f64 v[106:107], v[148:149], s[26:27], -v[196:197]
	v_mul_f64 v[188:189], v[130:131], s[10:11]
	v_fma_f64 v[190:191], v[122:123], s[52:53], v[176:177]
	v_add_f64 v[180:181], v[30:31], v[180:181]
	v_add_f64 v[96:97], v[102:103], v[96:97]
	v_fma_f64 v[102:103], v[158:159], s[16:17], -v[178:179]
	v_mul_f64 v[178:179], v[126:127], s[14:15]
	v_fma_f64 v[192:193], v[116:117], s[38:39], v[182:183]
	v_add_f64 v[186:187], v[28:29], v[186:187]
	v_mul_f64 v[194:195], v[150:151], s[16:17]
	v_fma_f64 v[196:197], v[128:129], s[50:51], v[188:189]
	v_add_f64 v[180:181], v[190:191], v[180:181]
	v_add_f64 v[96:97], v[106:107], v[96:97]
	v_mul_f64 v[106:107], v[140:141], s[24:25]
	v_fma_f64 v[184:185], v[120:121], s[22:23], v[184:185]
	v_fma_f64 v[190:191], v[124:125], s[10:11], v[178:179]
	v_add_f64 v[186:187], v[192:193], v[186:187]
	v_mul_f64 v[192:193], v[154:155], s[42:43]
	v_fma_f64 v[198:199], v[134:135], s[12:13], v[194:195]
	v_add_f64 v[180:181], v[196:197], v[180:181]
	v_mul_f64 v[196:197], v[142:143], s[56:57]
	v_fma_f64 v[176:177], v[122:123], s[34:35], v[176:177]
	v_add_f64 v[184:185], v[30:31], v[184:185]
	v_fma_f64 v[200:201], v[132:133], s[16:17], v[106:107]
	v_add_f64 v[186:187], v[190:191], v[186:187]
	v_mul_f64 v[190:191], v[166:167], s[20:21]
	v_fma_f64 v[202:203], v[138:139], s[44:45], v[192:193]
	v_add_f64 v[180:181], v[198:199], v[180:181]
	v_mul_f64 v[198:199], v[156:157], s[18:19]
	v_fma_f64 v[188:189], v[128:129], s[14:15], v[188:189]
	v_add_f64 v[176:177], v[176:177], v[184:185]
	;; [unrolled: 8-line block ×4, first 2 shown]
	v_fma_f64 v[194:195], v[158:159], s[6:7], v[202:203]
	v_add_f64 v[184:185], v[188:189], v[184:185]
	v_add_f64 v[96:97], v[102:103], v[96:97]
	v_fma_f64 v[100:101], v[112:113], s[26:27], -v[100:101]
	v_fma_f64 v[102:103], v[162:163], s[30:31], v[186:187]
	v_add_f64 v[180:181], v[206:207], v[180:181]
	v_fma_f64 v[188:189], v[152:153], s[18:19], v[190:191]
	v_add_f64 v[176:177], v[192:193], v[176:177]
	;; [unrolled: 2-line block ×3, first 2 shown]
	v_add_f64 v[96:97], v[104:105], v[96:97]
	v_fma_f64 v[104:105], v[116:117], s[38:39], -v[182:183]
	v_mul_f64 v[182:183], v[144:145], s[42:43]
	v_add_f64 v[192:193], v[28:29], v[100:101]
	v_add_f64 v[102:103], v[102:103], v[180:181]
	v_fma_f64 v[178:179], v[124:125], s[10:11], -v[178:179]
	v_mul_f64 v[180:181], v[146:147], s[6:7]
	v_add_f64 v[100:101], v[190:191], v[184:185]
	v_fma_f64 v[194:195], v[160:161], s[46:47], v[200:201]
	v_add_f64 v[176:177], v[188:189], v[176:177]
	v_fma_f64 v[184:185], v[120:121], s[44:45], v[182:183]
	v_add_f64 v[104:105], v[104:105], v[192:193]
	v_fma_f64 v[106:107], v[132:133], s[16:17], -v[106:107]
	v_mul_f64 v[188:189], v[114:115], s[56:57]
	v_mul_f64 v[190:191], v[130:131], s[38:39]
	v_fma_f64 v[192:193], v[122:123], s[46:47], v[180:181]
	v_mul_f64 v[208:209], v[154:155], s[40:41]
	v_add_f64 v[176:177], v[194:195], v[176:177]
	v_add_f64 v[184:185], v[30:31], v[184:185]
	;; [unrolled: 1-line block ×3, first 2 shown]
	v_fma_f64 v[194:195], v[164:165], s[40:41], -v[204:205]
	v_fma_f64 v[178:179], v[136:137], s[42:43], -v[196:197]
	v_mul_f64 v[196:197], v[118:119], s[4:5]
	v_fma_f64 v[200:201], v[112:113], s[42:43], v[188:189]
	v_mul_f64 v[204:205], v[150:151], s[10:11]
	v_fma_f64 v[206:207], v[128:129], s[34:35], v[190:191]
	v_add_f64 v[184:185], v[192:193], v[184:185]
	v_add_f64 v[104:105], v[106:107], v[104:105]
	v_fma_f64 v[106:107], v[148:149], s[20:21], -v[198:199]
	v_mul_f64 v[192:193], v[126:127], s[52:53]
	v_fma_f64 v[198:199], v[116:117], s[6:7], v[196:197]
	v_add_f64 v[200:201], v[28:29], v[200:201]
	v_fma_f64 v[210:211], v[134:135], s[50:51], v[204:205]
	v_fma_f64 v[212:213], v[138:139], s[30:31], v[208:209]
	v_add_f64 v[184:185], v[206:207], v[184:185]
	v_add_f64 v[104:105], v[178:179], v[104:105]
	v_fma_f64 v[178:179], v[158:159], s[6:7], -v[202:203]
	v_mul_f64 v[202:203], v[140:141], s[14:15]
	v_fma_f64 v[206:207], v[124:125], s[38:39], v[192:193]
	v_add_f64 v[198:199], v[198:199], v[200:201]
	v_mul_f64 v[200:201], v[166:167], s[16:17]
	v_fma_f64 v[180:181], v[122:123], s[4:5], v[180:181]
	v_add_f64 v[184:185], v[210:211], v[184:185]
	v_add_f64 v[104:105], v[106:107], v[104:105]
	v_fma_f64 v[106:107], v[120:121], s[56:57], v[182:183]
	v_mul_f64 v[210:211], v[142:143], s[36:37]
	v_fma_f64 v[182:183], v[132:133], s[10:11], v[202:203]
	v_add_f64 v[198:199], v[206:207], v[198:199]
	v_mul_f64 v[206:207], v[170:171], s[26:27]
	v_fma_f64 v[214:215], v[152:153], s[24:25], v[200:201]
	v_add_f64 v[184:185], v[212:213], v[184:185]
	v_mul_f64 v[212:213], v[156:157], s[12:13]
	v_add_f64 v[106:107], v[30:31], v[106:107]
	v_fma_f64 v[219:220], v[136:137], s[40:41], v[210:211]
	v_fma_f64 v[190:191], v[128:129], s[52:53], v[190:191]
	v_add_f64 v[182:183], v[182:183], v[198:199]
	v_mul_f64 v[198:199], v[174:175], s[20:21]
	v_fma_f64 v[221:222], v[160:161], s[28:29], v[206:207]
	v_add_f64 v[184:185], v[214:215], v[184:185]
	v_fma_f64 v[186:187], v[162:163], s[36:37], v[186:187]
	v_add_f64 v[106:107], v[180:181], v[106:107]
	;; [unrolled: 2-line block ×3, first 2 shown]
	v_add_f64 v[182:183], v[219:220], v[182:183]
	v_fma_f64 v[219:220], v[162:163], s[54:55], v[198:199]
	v_fma_f64 v[204:205], v[134:135], s[14:15], v[204:205]
	v_add_f64 v[184:185], v[221:222], v[184:185]
	v_add_f64 v[178:179], v[186:187], v[176:177]
	;; [unrolled: 1-line block ×3, first 2 shown]
	v_fma_f64 v[188:189], v[112:113], s[42:43], -v[188:189]
	v_add_f64 v[176:177], v[194:195], v[104:105]
	v_add_f64 v[180:181], v[180:181], v[182:183]
	v_fma_f64 v[104:105], v[138:139], s[36:37], v[208:209]
	v_mul_f64 v[182:183], v[144:145], s[40:41]
	v_add_f64 v[106:107], v[219:220], v[184:185]
	v_mul_f64 v[214:215], v[168:169], s[22:23]
	v_add_f64 v[184:185], v[204:205], v[190:191]
	v_fma_f64 v[190:191], v[162:163], s[18:19], v[198:199]
	v_fma_f64 v[194:195], v[152:153], s[12:13], v[200:201]
	v_mul_f64 v[198:199], v[146:147], s[26:27]
	v_fma_f64 v[196:197], v[116:117], s[6:7], -v[196:197]
	v_fma_f64 v[200:201], v[120:121], s[36:37], v[182:183]
	v_mul_f64 v[204:205], v[114:115], s[30:31]
	v_add_f64 v[188:189], v[28:29], v[188:189]
	v_add_f64 v[104:105], v[104:105], v[184:185]
	v_fma_f64 v[223:224], v[158:159], s[26:27], v[214:215]
	v_fma_f64 v[184:185], v[160:161], s[22:23], v[206:207]
	v_mul_f64 v[206:207], v[130:131], s[6:7]
	v_fma_f64 v[208:209], v[122:123], s[28:29], v[198:199]
	v_add_f64 v[200:201], v[30:31], v[200:201]
	v_fma_f64 v[192:193], v[124:125], s[38:39], -v[192:193]
	v_fma_f64 v[219:220], v[112:113], s[40:41], v[204:205]
	v_add_f64 v[104:105], v[194:195], v[104:105]
	v_mul_f64 v[194:195], v[118:119], s[22:23]
	v_add_f64 v[188:189], v[196:197], v[188:189]
	v_add_f64 v[26:27], v[30:31], v[26:27]
	;; [unrolled: 1-line block ×4, first 2 shown]
	v_mul_f64 v[196:197], v[150:151], s[38:39]
	v_fma_f64 v[223:224], v[128:129], s[46:47], v[206:207]
	v_add_f64 v[200:201], v[208:209], v[200:201]
	v_fma_f64 v[202:203], v[132:133], s[10:11], -v[202:203]
	v_mul_f64 v[208:209], v[126:127], s[4:5]
	v_fma_f64 v[225:226], v[116:117], s[26:27], v[194:195]
	v_add_f64 v[219:220], v[28:29], v[219:220]
	v_add_f64 v[188:189], v[192:193], v[188:189]
	;; [unrolled: 1-line block ×4, first 2 shown]
	v_mul_f64 v[192:193], v[154:155], s[20:21]
	v_fma_f64 v[227:228], v[134:135], s[52:53], v[196:197]
	v_add_f64 v[200:201], v[223:224], v[200:201]
	v_fma_f64 v[210:211], v[136:137], s[40:41], -v[210:211]
	v_mul_f64 v[223:224], v[140:141], s[34:35]
	v_fma_f64 v[229:230], v[124:125], s[6:7], v[208:209]
	v_add_f64 v[219:220], v[225:226], v[219:220]
	v_add_f64 v[188:189], v[202:203], v[188:189]
	;; [unrolled: 1-line block ×4, first 2 shown]
	v_fma_f64 v[225:226], v[138:139], s[18:19], v[192:193]
	v_add_f64 v[200:201], v[227:228], v[200:201]
	v_fma_f64 v[212:213], v[148:149], s[16:17], -v[212:213]
	v_mul_f64 v[227:228], v[142:143], s[54:55]
	v_fma_f64 v[231:232], v[132:133], s[38:39], v[223:224]
	v_add_f64 v[219:220], v[229:230], v[219:220]
	v_add_f64 v[188:189], v[210:211], v[188:189]
	v_add_f64 v[26:27], v[26:27], v[50:51]
	v_add_f64 v[24:25], v[24:25], v[48:49]
	v_mul_f64 v[221:222], v[172:173], s[18:19]
	v_add_f64 v[200:201], v[225:226], v[200:201]
	v_fma_f64 v[214:215], v[158:159], s[26:27], -v[214:215]
	v_mul_f64 v[225:226], v[156:157], s[14:15]
	v_fma_f64 v[233:234], v[136:137], s[20:21], v[227:228]
	v_add_f64 v[219:220], v[231:232], v[219:220]
	v_add_f64 v[188:189], v[212:213], v[188:189]
	;; [unrolled: 1-line block ×4, first 2 shown]
	v_fma_f64 v[186:187], v[164:165], s[20:21], v[221:222]
	v_add_f64 v[184:185], v[184:185], v[104:105]
	v_fma_f64 v[104:105], v[148:149], s[10:11], v[225:226]
	v_fma_f64 v[221:222], v[164:165], s[20:21], -v[221:222]
	v_add_f64 v[219:220], v[233:234], v[219:220]
	v_add_f64 v[188:189], v[214:215], v[188:189]
	v_fma_f64 v[233:234], v[120:121], s[30:31], v[182:183]
	v_add_f64 v[58:59], v[58:59], v[70:71]
	v_add_f64 v[24:25], v[24:25], v[68:69]
	v_mul_f64 v[202:203], v[166:167], s[10:11]
	v_add_f64 v[182:183], v[190:191], v[184:185]
	v_fma_f64 v[184:185], v[122:123], s[22:23], v[198:199]
	v_add_f64 v[219:220], v[104:105], v[219:220]
	v_add_f64 v[104:105], v[186:187], v[180:181]
	;; [unrolled: 1-line block ×4, first 2 shown]
	v_fma_f64 v[204:205], v[112:113], s[40:41], -v[204:205]
	v_add_f64 v[58:59], v[58:59], v[74:75]
	v_add_f64 v[24:25], v[24:25], v[72:73]
	v_fma_f64 v[229:230], v[152:153], s[50:51], v[202:203]
	v_fma_f64 v[206:207], v[128:129], s[4:5], v[206:207]
	v_mul_f64 v[144:145], v[144:145], s[16:17]
	v_fma_f64 v[194:195], v[116:117], s[26:27], -v[194:195]
	v_add_f64 v[184:185], v[184:185], v[188:189]
	v_fma_f64 v[188:189], v[152:153], s[14:15], v[202:203]
	v_add_f64 v[202:203], v[28:29], v[204:205]
	v_mul_f64 v[72:73], v[114:115], s[12:13]
	v_add_f64 v[58:59], v[58:59], v[82:83]
	v_add_f64 v[24:25], v[24:25], v[80:81]
	v_fma_f64 v[196:197], v[134:135], s[34:35], v[196:197]
	v_mul_f64 v[146:147], v[146:147], s[40:41]
	v_fma_f64 v[204:205], v[120:121], s[24:25], v[144:145]
	v_add_f64 v[184:185], v[206:207], v[184:185]
	v_fma_f64 v[206:207], v[124:125], s[6:7], -v[208:209]
	v_add_f64 v[194:195], v[194:195], v[202:203]
	v_fma_f64 v[120:121], v[120:121], s[12:13], v[144:145]
	v_mul_f64 v[118:119], v[118:119], s[30:31]
	v_fma_f64 v[80:81], v[112:113], s[16:17], -v[72:73]
	v_fma_f64 v[72:73], v[112:113], s[16:17], v[72:73]
	v_add_f64 v[58:59], v[58:59], v[78:79]
	v_add_f64 v[24:25], v[24:25], v[76:77]
	v_fma_f64 v[192:193], v[138:139], s[54:55], v[192:193]
	v_mul_f64 v[130:131], v[130:131], s[42:43]
	v_fma_f64 v[202:203], v[122:123], s[36:37], v[146:147]
	v_add_f64 v[204:205], v[30:31], v[204:205]
	v_add_f64 v[184:185], v[196:197], v[184:185]
	v_fma_f64 v[196:197], v[132:133], s[38:39], -v[223:224]
	v_add_f64 v[36:37], v[206:207], v[194:195]
	v_mul_f64 v[82:83], v[126:127], s[56:57]
	v_fma_f64 v[112:113], v[122:123], s[30:31], v[146:147]
	v_add_f64 v[30:31], v[30:31], v[120:121]
	v_fma_f64 v[120:121], v[116:117], s[40:41], -v[118:119]
	v_add_f64 v[76:77], v[28:29], v[80:81]
	v_fma_f64 v[78:79], v[116:117], s[40:41], v[118:119]
	v_add_f64 v[28:29], v[28:29], v[72:73]
	v_add_f64 v[58:59], v[58:59], v[66:67]
	;; [unrolled: 1-line block ×3, first 2 shown]
	v_mul_f64 v[210:211], v[170:171], s[42:43]
	v_mul_f64 v[38:39], v[150:151], s[26:27]
	v_fma_f64 v[150:151], v[128:129], s[44:45], v[130:131]
	v_add_f64 v[194:195], v[202:203], v[204:205]
	v_add_f64 v[184:185], v[192:193], v[184:185]
	v_fma_f64 v[192:193], v[136:137], s[20:21], -v[227:228]
	v_add_f64 v[36:37], v[196:197], v[36:37]
	v_mul_f64 v[140:141], v[140:141], s[22:23]
	v_fma_f64 v[72:73], v[128:129], s[56:57], v[130:131]
	v_add_f64 v[30:31], v[112:113], v[30:31]
	v_fma_f64 v[80:81], v[124:125], s[42:43], -v[82:83]
	v_add_f64 v[64:65], v[120:121], v[76:77]
	v_fma_f64 v[66:67], v[124:125], s[42:43], v[82:83]
	v_add_f64 v[28:29], v[78:79], v[28:29]
	v_add_f64 v[58:59], v[58:59], v[62:63]
	;; [unrolled: 1-line block ×3, first 2 shown]
	v_mul_f64 v[212:213], v[174:175], s[16:17]
	v_fma_f64 v[231:232], v[160:161], s[56:57], v[210:211]
	v_add_f64 v[200:201], v[229:230], v[200:201]
	v_mul_f64 v[229:230], v[168:169], s[44:45]
	v_fma_f64 v[210:211], v[160:161], s[44:45], v[210:211]
	v_mul_f64 v[40:41], v[154:155], s[10:11]
	v_fma_f64 v[42:43], v[134:135], s[28:29], v[38:39]
	v_add_f64 v[150:151], v[150:151], v[194:195]
	v_add_f64 v[154:155], v[188:189], v[184:185]
	v_fma_f64 v[184:185], v[148:149], s[10:11], -v[225:226]
	v_add_f64 v[36:37], v[192:193], v[36:37]
	v_mul_f64 v[114:115], v[142:143], s[50:51]
	v_fma_f64 v[38:39], v[134:135], s[22:23], v[38:39]
	v_add_f64 v[30:31], v[72:73], v[30:31]
	v_fma_f64 v[72:73], v[132:133], s[26:27], -v[140:141]
	v_add_f64 v[60:61], v[80:81], v[64:65]
	v_fma_f64 v[62:63], v[132:133], s[26:27], v[140:141]
	v_add_f64 v[28:29], v[66:67], v[28:29]
	v_add_f64 v[54:55], v[58:59], v[54:55]
	v_add_f64 v[24:25], v[24:25], v[52:53]
	v_fma_f64 v[214:215], v[162:163], s[12:13], v[212:213]
	v_add_f64 v[200:201], v[231:232], v[200:201]
	v_mul_f64 v[48:49], v[166:167], s[6:7]
	v_fma_f64 v[50:51], v[138:139], s[14:15], v[40:41]
	v_add_f64 v[42:43], v[42:43], v[150:151]
	v_add_f64 v[150:151], v[210:211], v[154:155]
	v_fma_f64 v[154:155], v[158:159], s[42:43], -v[229:230]
	v_add_f64 v[36:37], v[184:185], v[36:37]
	v_mul_f64 v[74:75], v[156:157], s[4:5]
	v_fma_f64 v[40:41], v[138:139], s[50:51], v[40:41]
	v_add_f64 v[30:31], v[38:39], v[30:31]
	v_fma_f64 v[38:39], v[136:137], s[10:11], -v[114:115]
	v_add_f64 v[52:53], v[72:73], v[60:61]
	v_fma_f64 v[58:59], v[136:137], s[10:11], v[114:115]
	v_add_f64 v[28:29], v[62:63], v[28:29]
	v_add_f64 v[46:47], v[54:55], v[46:47]
	;; [unrolled: 1-line block ×4, first 2 shown]
	v_fma_f64 v[200:201], v[162:163], s[24:25], v[212:213]
	v_mul_f64 v[56:57], v[170:171], s[20:21]
	v_fma_f64 v[166:167], v[152:153], s[46:47], v[48:49]
	v_add_f64 v[36:37], v[154:155], v[36:37]
	v_mul_f64 v[154:155], v[168:169], s[18:19]
	v_fma_f64 v[48:49], v[152:153], s[4:5], v[48:49]
	v_add_f64 v[30:31], v[40:41], v[30:31]
	v_fma_f64 v[40:41], v[148:149], s[6:7], -v[74:75]
	v_add_f64 v[38:39], v[38:39], v[52:53]
	v_add_f64 v[42:43], v[50:51], v[42:43]
	v_fma_f64 v[44:45], v[148:149], s[6:7], v[74:75]
	v_add_f64 v[28:29], v[58:59], v[28:29]
	v_add_f64 v[34:35], v[46:47], v[34:35]
	;; [unrolled: 1-line block ×4, first 2 shown]
	v_mul_f64 v[68:69], v[174:175], s[38:39]
	v_mul_f64 v[150:151], v[172:173], s[34:35]
	v_fma_f64 v[52:53], v[160:161], s[18:19], v[56:57]
	v_add_f64 v[30:31], v[48:49], v[30:31]
	v_fma_f64 v[48:49], v[158:159], s[20:21], -v[154:155]
	v_add_f64 v[32:33], v[40:41], v[38:39]
	v_mul_f64 v[231:232], v[172:173], s[24:25]
	v_fma_f64 v[70:71], v[160:161], s[54:55], v[56:57]
	v_add_f64 v[42:43], v[166:167], v[42:43]
	v_fma_f64 v[235:236], v[158:159], s[42:43], v[229:230]
	v_fma_f64 v[38:39], v[158:159], s[20:21], v[154:155]
	v_add_f64 v[28:29], v[44:45], v[28:29]
	v_add_f64 v[34:35], v[34:35], v[18:19]
	;; [unrolled: 1-line block ×3, first 2 shown]
	v_fma_f64 v[40:41], v[162:163], s[34:35], v[68:69]
	v_add_f64 v[30:31], v[52:53], v[30:31]
	v_fma_f64 v[44:45], v[164:165], s[38:39], -v[150:151]
	v_add_f64 v[24:25], v[48:49], v[32:33]
	v_fma_f64 v[50:51], v[164:165], s[16:17], -v[231:232]
	v_fma_f64 v[32:33], v[162:163], s[52:53], v[68:69]
	v_add_f64 v[42:43], v[70:71], v[42:43]
	v_fma_f64 v[190:191], v[164:165], s[16:17], v[231:232]
	v_add_f64 v[198:199], v[235:236], v[219:220]
	;; [unrolled: 2-line block ×3, first 2 shown]
	v_add_f64 v[2:3], v[34:35], v[2:3]
	v_add_f64 v[0:1], v[16:17], v[0:1]
	;; [unrolled: 1-line block ×6, first 2 shown]
	v_mul_u32_u24_e32 v32, 0x110, v108
	v_add3_u32 v32, 0, v32, v218
	v_add_f64 v[184:185], v[190:191], v[198:199]
	v_add_f64 v[28:29], v[46:47], v[28:29]
	ds_write_b128 v32, v[0:3]
	ds_write_b128 v32, v[16:19] offset:16
	ds_write_b128 v32, v[24:27] offset:32
	;; [unrolled: 1-line block ×16, first 2 shown]
.LBB0_20:
	s_or_b64 exec, exec, s[48:49]
	s_waitcnt lgkmcnt(0)
	s_barrier
	ds_read_b128 v[0:3], v217
	ds_read_b128 v[16:19], v109 offset:1088
	ds_read_b128 v[36:39], v109 offset:2992
	;; [unrolled: 1-line block ×7, first 2 shown]
	v_cmp_gt_u32_e32 vcc, 51, v108
	s_and_saveexec_b64 s[4:5], vcc
	s_cbranch_execz .LBB0_22
; %bb.21:
	ds_read_b128 v[4:7], v109 offset:2176
	ds_read_b128 v[8:11], v109 offset:5168
	;; [unrolled: 1-line block ×4, first 2 shown]
.LBB0_22:
	s_or_b64 exec, exec, s[4:5]
	s_movk_i32 s6, 0xf1
	v_mul_lo_u16_sdwa v48, v108, s6 dst_sel:DWORD dst_unused:UNUSED_PAD src0_sel:BYTE_0 src1_sel:DWORD
	v_add_u16_e32 v58, 0x44, v108
	v_lshrrev_b16_e32 v74, 12, v48
	v_mul_lo_u16_sdwa v59, v58, s6 dst_sel:DWORD dst_unused:UNUSED_PAD src0_sel:BYTE_0 src1_sel:DWORD
	v_mul_lo_u16_e32 v48, 17, v74
	v_lshrrev_b16_e32 v76, 12, v59
	v_sub_u16_e32 v75, v108, v48
	v_mov_b32_e32 v48, 3
	v_mul_lo_u16_e32 v59, 17, v76
	v_mul_u32_u24_sdwa v49, v75, v48 dst_sel:DWORD dst_unused:UNUSED_PAD src0_sel:BYTE_0 src1_sel:DWORD
	v_sub_u16_e32 v77, v58, v59
	v_lshlrev_b32_e32 v49, 4, v49
	v_mul_u32_u24_sdwa v62, v77, v48 dst_sel:DWORD dst_unused:UNUSED_PAD src0_sel:BYTE_0 src1_sel:DWORD
	global_load_dwordx4 v[50:53], v49, s[8:9] offset:16
	global_load_dwordx4 v[54:57], v49, s[8:9]
	global_load_dwordx4 v[58:61], v49, s[8:9] offset:32
	v_lshlrev_b32_e32 v49, 4, v62
	global_load_dwordx4 v[62:65], v49, s[8:9]
	global_load_dwordx4 v[66:69], v49, s[8:9] offset:16
	global_load_dwordx4 v[70:73], v49, s[8:9] offset:32
	s_movk_i32 s7, 0x440
	v_mov_b32_e32 v49, 4
	v_mad_u32_u24 v74, v74, s7, 0
	v_mad_u32_u24 v76, v76, s7, 0
	v_lshlrev_b32_sdwa v75, v49, v75 dst_sel:DWORD dst_unused:UNUSED_PAD src0_sel:DWORD src1_sel:BYTE_0
	v_lshlrev_b32_sdwa v77, v49, v77 dst_sel:DWORD dst_unused:UNUSED_PAD src0_sel:DWORD src1_sel:BYTE_0
	v_add3_u32 v86, v74, v75, v218
	v_add3_u32 v87, v76, v77, v218
	s_waitcnt vmcnt(0) lgkmcnt(0)
	s_barrier
	v_mul_f64 v[76:77], v[42:43], v[52:53]
	v_mul_f64 v[74:75], v[38:39], v[56:57]
	;; [unrolled: 1-line block ×12, first 2 shown]
	v_fma_f64 v[36:37], v[36:37], v[54:55], -v[74:75]
	v_fma_f64 v[38:39], v[38:39], v[54:55], v[56:57]
	v_fma_f64 v[40:41], v[40:41], v[50:51], -v[76:77]
	v_fma_f64 v[42:43], v[42:43], v[50:51], v[52:53]
	;; [unrolled: 2-line block ×6, first 2 shown]
	v_add_f64 v[40:41], v[0:1], -v[40:41]
	v_add_f64 v[42:43], v[2:3], -v[42:43]
	;; [unrolled: 1-line block ×8, first 2 shown]
	v_fma_f64 v[54:55], v[0:1], 2.0, -v[40:41]
	v_fma_f64 v[56:57], v[2:3], 2.0, -v[42:43]
	;; [unrolled: 1-line block ×8, first 2 shown]
	v_add_f64 v[0:1], v[40:41], -v[46:47]
	v_add_f64 v[2:3], v[42:43], v[44:45]
	v_add_f64 v[24:25], v[54:55], -v[30:31]
	v_add_f64 v[26:27], v[56:57], -v[34:35]
	;; [unrolled: 1-line block ×5, first 2 shown]
	v_add_f64 v[18:19], v[52:53], v[32:33]
	v_fma_f64 v[32:33], v[40:41], 2.0, -v[0:1]
	v_fma_f64 v[34:35], v[42:43], 2.0, -v[2:3]
	;; [unrolled: 1-line block ×8, first 2 shown]
	ds_write_b128 v86, v[0:3] offset:816
	ds_write_b128 v86, v[32:35] offset:272
	;; [unrolled: 1-line block ×3, first 2 shown]
	ds_write_b128 v86, v[40:43]
	ds_write_b128 v87, v[44:47]
	ds_write_b128 v87, v[36:39] offset:272
	ds_write_b128 v87, v[28:31] offset:544
	;; [unrolled: 1-line block ×3, first 2 shown]
	s_and_saveexec_b64 s[4:5], vcc
	s_cbranch_execz .LBB0_24
; %bb.23:
	v_add_u16_e32 v0, 0x88, v108
	v_mul_lo_u16_sdwa v1, v0, s6 dst_sel:DWORD dst_unused:UNUSED_PAD src0_sel:BYTE_0 src1_sel:DWORD
	v_lshrrev_b16_e32 v34, 12, v1
	v_mul_lo_u16_e32 v1, 17, v34
	v_sub_u16_e32 v35, v0, v1
	v_mul_u32_u24_sdwa v0, v35, v48 dst_sel:DWORD dst_unused:UNUSED_PAD src0_sel:BYTE_0 src1_sel:DWORD
	v_lshlrev_b32_e32 v28, 4, v0
	global_load_dwordx4 v[0:3], v28, s[8:9] offset:16
	global_load_dwordx4 v[16:19], v28, s[8:9]
	global_load_dwordx4 v[24:27], v28, s[8:9] offset:32
	s_waitcnt vmcnt(2)
	v_mul_f64 v[28:29], v[12:13], v[2:3]
	s_waitcnt vmcnt(1)
	v_mul_f64 v[30:31], v[10:11], v[18:19]
	v_mul_f64 v[18:19], v[8:9], v[18:19]
	s_waitcnt vmcnt(0)
	v_mul_f64 v[32:33], v[20:21], v[26:27]
	v_mul_f64 v[2:3], v[14:15], v[2:3]
	;; [unrolled: 1-line block ×3, first 2 shown]
	v_fma_f64 v[14:15], v[14:15], v[0:1], v[28:29]
	v_fma_f64 v[8:9], v[8:9], v[16:17], -v[30:31]
	v_fma_f64 v[10:11], v[10:11], v[16:17], v[18:19]
	v_fma_f64 v[16:17], v[22:23], v[24:25], v[32:33]
	v_fma_f64 v[0:1], v[12:13], v[0:1], -v[2:3]
	v_fma_f64 v[2:3], v[20:21], v[24:25], -v[26:27]
	v_add_f64 v[12:13], v[6:7], -v[14:15]
	v_add_f64 v[14:15], v[10:11], -v[16:17]
	;; [unrolled: 1-line block ×4, first 2 shown]
	v_fma_f64 v[18:19], v[6:7], 2.0, -v[12:13]
	v_fma_f64 v[6:7], v[10:11], 2.0, -v[14:15]
	;; [unrolled: 1-line block ×4, first 2 shown]
	v_add_f64 v[2:3], v[12:13], v[0:1]
	v_add_f64 v[0:1], v[16:17], -v[14:15]
	v_add_f64 v[6:7], v[18:19], -v[6:7]
	;; [unrolled: 1-line block ×3, first 2 shown]
	v_fma_f64 v[10:11], v[12:13], 2.0, -v[2:3]
	v_fma_f64 v[8:9], v[16:17], 2.0, -v[0:1]
	v_mad_u32_u24 v16, v34, s7, 0
	v_lshlrev_b32_sdwa v17, v49, v35 dst_sel:DWORD dst_unused:UNUSED_PAD src0_sel:DWORD src1_sel:BYTE_0
	v_add3_u32 v16, v16, v17, v218
	v_fma_f64 v[14:15], v[18:19], 2.0, -v[6:7]
	v_fma_f64 v[12:13], v[20:21], 2.0, -v[4:5]
	ds_write_b128 v16, v[8:11] offset:272
	ds_write_b128 v16, v[4:7] offset:544
	ds_write_b128 v16, v[12:15]
	ds_write_b128 v16, v[0:3] offset:816
.LBB0_24:
	s_or_b64 exec, exec, s[4:5]
	v_mul_u32_u24_e32 v0, 10, v108
	v_lshlrev_b32_e32 v40, 4, v0
	s_waitcnt lgkmcnt(0)
	s_barrier
	global_load_dwordx4 v[0:3], v40, s[8:9] offset:816
	global_load_dwordx4 v[4:7], v40, s[8:9] offset:832
	;; [unrolled: 1-line block ×10, first 2 shown]
	ds_read_b128 v[40:43], v217
	ds_read_b128 v[44:47], v109 offset:1088
	ds_read_b128 v[48:51], v109 offset:2176
	;; [unrolled: 1-line block ×10, first 2 shown]
	s_mov_b32 s20, 0xf8bb580b
	s_mov_b32 s8, 0x43842ef
	;; [unrolled: 1-line block ×26, first 2 shown]
	s_waitcnt vmcnt(0) lgkmcnt(0)
	s_barrier
	v_mul_f64 v[84:85], v[46:47], v[2:3]
	v_mul_f64 v[2:3], v[44:45], v[2:3]
	v_mul_f64 v[86:87], v[50:51], v[6:7]
	v_mul_f64 v[6:7], v[48:49], v[6:7]
	v_mul_f64 v[88:89], v[54:55], v[10:11]
	v_mul_f64 v[10:11], v[52:53], v[10:11]
	v_mul_f64 v[90:91], v[58:59], v[14:15]
	v_mul_f64 v[14:15], v[56:57], v[14:15]
	v_mul_f64 v[92:93], v[62:63], v[18:19]
	v_mul_f64 v[18:19], v[60:61], v[18:19]
	v_mul_f64 v[94:95], v[66:67], v[22:23]
	v_mul_f64 v[22:23], v[64:65], v[22:23]
	v_mul_f64 v[96:97], v[70:71], v[26:27]
	v_mul_f64 v[26:27], v[68:69], v[26:27]
	v_mul_f64 v[98:99], v[74:75], v[30:31]
	v_mul_f64 v[30:31], v[72:73], v[30:31]
	v_mul_f64 v[100:101], v[78:79], v[34:35]
	v_mul_f64 v[34:35], v[76:77], v[34:35]
	v_mul_f64 v[102:103], v[82:83], v[38:39]
	v_mul_f64 v[38:39], v[80:81], v[38:39]
	v_fma_f64 v[44:45], v[44:45], v[0:1], -v[84:85]
	v_fma_f64 v[0:1], v[46:47], v[0:1], v[2:3]
	v_fma_f64 v[2:3], v[48:49], v[4:5], -v[86:87]
	v_fma_f64 v[4:5], v[50:51], v[4:5], v[6:7]
	;; [unrolled: 2-line block ×10, first 2 shown]
	v_add_f64 v[34:35], v[40:41], v[44:45]
	v_add_f64 v[46:47], v[42:43], v[0:1]
	;; [unrolled: 1-line block ×4, first 2 shown]
	v_add_f64 v[0:1], v[0:1], -v[36:37]
	v_add_f64 v[44:45], v[44:45], -v[26:27]
	v_add_f64 v[52:53], v[2:3], v[30:31]
	v_add_f64 v[56:57], v[2:3], -v[30:31]
	v_add_f64 v[2:3], v[34:35], v[2:3]
	v_add_f64 v[54:55], v[4:5], v[32:33]
	v_add_f64 v[58:59], v[4:5], -v[32:33]
	v_add_f64 v[4:5], v[46:47], v[4:5]
	v_mul_f64 v[34:35], v[0:1], s[20:21]
	v_mul_f64 v[60:61], v[0:1], s[10:11]
	;; [unrolled: 1-line block ×4, first 2 shown]
	v_add_f64 v[2:3], v[2:3], v[6:7]
	v_mul_f64 v[0:1], v[0:1], s[22:23]
	v_mul_f64 v[46:47], v[44:45], s[20:21]
	v_add_f64 v[4:5], v[4:5], v[8:9]
	v_fma_f64 v[80:81], v[48:49], s[12:13], -v[34:35]
	v_fma_f64 v[34:35], v[48:49], s[12:13], v[34:35]
	v_fma_f64 v[84:85], v[48:49], s[4:5], -v[60:61]
	v_fma_f64 v[60:61], v[48:49], s[4:5], v[60:61]
	v_add_f64 v[2:3], v[2:3], v[10:11]
	v_fma_f64 v[88:89], v[48:49], s[6:7], -v[64:65]
	v_fma_f64 v[64:65], v[48:49], s[6:7], v[64:65]
	v_add_f64 v[4:5], v[4:5], v[12:13]
	v_fma_f64 v[92:93], v[48:49], s[14:15], -v[68:69]
	v_fma_f64 v[68:69], v[48:49], s[14:15], v[68:69]
	v_fma_f64 v[96:97], v[48:49], s[18:19], -v[0:1]
	v_fma_f64 v[48:49], v[48:49], s[18:19], v[0:1]
	v_add_f64 v[2:3], v[2:3], v[14:15]
	v_mul_f64 v[62:63], v[44:45], s[10:11]
	v_mul_f64 v[66:67], v[44:45], s[8:9]
	v_add_f64 v[4:5], v[4:5], v[16:17]
	v_mul_f64 v[70:71], v[44:45], s[16:17]
	v_mul_f64 v[44:45], v[44:45], s[22:23]
	;; [unrolled: 1-line block ×3, first 2 shown]
	v_fma_f64 v[82:83], v[50:51], s[12:13], v[46:47]
	v_add_f64 v[0:1], v[2:3], v[18:19]
	v_mul_f64 v[72:73], v[58:59], s[10:11]
	v_mul_f64 v[76:77], v[58:59], s[16:17]
	v_add_f64 v[2:3], v[4:5], v[20:21]
	v_fma_f64 v[46:47], v[50:51], s[12:13], -v[46:47]
	v_fma_f64 v[86:87], v[50:51], s[4:5], v[62:63]
	v_fma_f64 v[62:63], v[50:51], s[4:5], -v[62:63]
	v_fma_f64 v[90:91], v[50:51], s[6:7], v[66:67]
	v_add_f64 v[0:1], v[0:1], v[22:23]
	v_fma_f64 v[66:67], v[50:51], s[6:7], -v[66:67]
	v_fma_f64 v[94:95], v[50:51], s[14:15], v[70:71]
	v_add_f64 v[2:3], v[2:3], v[24:25]
	v_fma_f64 v[70:71], v[50:51], s[14:15], -v[70:71]
	v_fma_f64 v[98:99], v[50:51], s[18:19], v[44:45]
	v_fma_f64 v[4:5], v[50:51], s[18:19], -v[44:45]
	v_fma_f64 v[50:51], v[54:55], s[4:5], v[74:75]
	v_add_f64 v[0:1], v[0:1], v[38:39]
	v_add_f64 v[82:83], v[42:43], v[82:83]
	v_mul_f64 v[78:79], v[56:57], s[16:17]
	v_add_f64 v[2:3], v[2:3], v[28:29]
	v_fma_f64 v[44:45], v[52:53], s[4:5], -v[72:73]
	v_fma_f64 v[72:73], v[52:53], s[4:5], v[72:73]
	v_fma_f64 v[74:75], v[54:55], s[4:5], -v[74:75]
	v_fma_f64 v[100:101], v[52:53], s[14:15], -v[76:77]
	v_add_f64 v[0:1], v[0:1], v[30:31]
	v_add_f64 v[80:81], v[40:41], v[80:81]
	;; [unrolled: 1-line block ×15, first 2 shown]
	v_mul_f64 v[48:49], v[58:59], s[28:29]
	v_mul_f64 v[50:51], v[56:57], s[28:29]
	v_add_f64 v[86:87], v[42:43], v[86:87]
	v_add_f64 v[62:63], v[42:43], v[62:63]
	;; [unrolled: 1-line block ×13, first 2 shown]
	v_fma_f64 v[46:47], v[54:55], s[14:15], v[78:79]
	v_mul_f64 v[72:73], v[58:59], s[26:27]
	v_fma_f64 v[74:75], v[52:53], s[14:15], v[76:77]
	v_fma_f64 v[76:77], v[54:55], s[14:15], -v[78:79]
	v_fma_f64 v[78:79], v[52:53], s[18:19], -v[48:49]
	v_fma_f64 v[80:81], v[54:55], s[18:19], v[50:51]
	v_fma_f64 v[48:49], v[52:53], s[18:19], v[48:49]
	v_fma_f64 v[50:51], v[54:55], s[18:19], -v[50:51]
	v_mul_f64 v[84:85], v[56:57], s[26:27]
	v_mul_f64 v[58:59], v[58:59], s[24:25]
	;; [unrolled: 1-line block ×3, first 2 shown]
	v_fma_f64 v[82:83], v[52:53], s[6:7], -v[72:73]
	v_add_f64 v[60:61], v[74:75], v[60:61]
	v_add_f64 v[62:63], v[76:77], v[62:63]
	;; [unrolled: 1-line block ×4, first 2 shown]
	v_fma_f64 v[64:65], v[54:55], s[6:7], v[84:85]
	v_fma_f64 v[66:67], v[52:53], s[6:7], v[72:73]
	v_add_f64 v[74:75], v[78:79], v[88:89]
	v_add_f64 v[76:77], v[80:81], v[90:91]
	v_add_f64 v[72:73], v[8:9], -v[28:29]
	v_fma_f64 v[78:79], v[54:55], s[6:7], -v[84:85]
	v_fma_f64 v[80:81], v[54:55], s[12:13], v[56:57]
	v_add_f64 v[8:9], v[8:9], v[28:29]
	v_add_f64 v[32:33], v[64:65], v[32:33]
	v_add_f64 v[64:65], v[6:7], -v[38:39]
	v_add_f64 v[66:67], v[66:67], v[68:69]
	v_fma_f64 v[68:69], v[52:53], s[12:13], -v[58:59]
	v_add_f64 v[6:7], v[6:7], v[38:39]
	v_mul_f64 v[38:39], v[72:73], s[8:9]
	v_add_f64 v[70:71], v[78:79], v[70:71]
	v_fma_f64 v[52:53], v[52:53], s[12:13], v[58:59]
	v_fma_f64 v[54:55], v[54:55], s[12:13], -v[56:57]
	v_mul_f64 v[28:29], v[64:65], s[8:9]
	v_mul_f64 v[78:79], v[72:73], s[28:29]
	v_add_f64 v[58:59], v[68:69], v[92:93]
	v_add_f64 v[68:69], v[80:81], v[94:95]
	v_mul_f64 v[80:81], v[64:65], s[28:29]
	v_add_f64 v[46:47], v[46:47], v[86:87]
	v_add_f64 v[30:31], v[82:83], v[30:31]
	v_fma_f64 v[56:57], v[6:7], s[6:7], -v[38:39]
	v_fma_f64 v[82:83], v[8:9], s[6:7], v[28:29]
	v_add_f64 v[26:27], v[52:53], v[26:27]
	v_add_f64 v[4:5], v[54:55], v[4:5]
	v_fma_f64 v[38:39], v[6:7], s[6:7], v[38:39]
	v_fma_f64 v[28:29], v[8:9], s[6:7], -v[28:29]
	v_fma_f64 v[52:53], v[6:7], s[18:19], -v[78:79]
	v_fma_f64 v[54:55], v[8:9], s[18:19], v[80:81]
	s_mov_b32 s11, 0x3fed1bb4
	v_add_f64 v[36:37], v[56:57], v[36:37]
	v_mul_f64 v[56:57], v[72:73], s[10:11]
	v_add_f64 v[40:41], v[82:83], v[40:41]
	v_add_f64 v[34:35], v[38:39], v[34:35]
	;; [unrolled: 1-line block ×5, first 2 shown]
	v_fma_f64 v[44:45], v[6:7], s[18:19], v[78:79]
	v_fma_f64 v[46:47], v[8:9], s[18:19], -v[80:81]
	v_mul_f64 v[78:79], v[72:73], s[20:21]
	v_mul_f64 v[80:81], v[64:65], s[20:21]
	v_fma_f64 v[52:53], v[6:7], s[4:5], -v[56:57]
	v_fma_f64 v[56:57], v[6:7], s[4:5], v[56:57]
	v_mul_f64 v[82:83], v[64:65], s[10:11]
	v_mul_f64 v[64:65], v[64:65], s[16:17]
	v_add_f64 v[44:45], v[44:45], v[60:61]
	v_add_f64 v[46:47], v[46:47], v[62:63]
	v_fma_f64 v[60:61], v[6:7], s[12:13], -v[78:79]
	v_fma_f64 v[62:63], v[8:9], s[12:13], v[80:81]
	v_add_f64 v[52:53], v[52:53], v[74:75]
	v_add_f64 v[48:49], v[56:57], v[48:49]
	v_mul_f64 v[56:57], v[72:73], s[16:17]
	v_fma_f64 v[72:73], v[6:7], s[12:13], v[78:79]
	v_fma_f64 v[74:75], v[8:9], s[12:13], -v[80:81]
	v_fma_f64 v[54:55], v[8:9], s[4:5], v[82:83]
	v_add_f64 v[30:31], v[60:61], v[30:31]
	v_add_f64 v[32:33], v[62:63], v[32:33]
	v_add_f64 v[60:61], v[12:13], -v[24:25]
	v_add_f64 v[62:63], v[10:11], -v[22:23]
	v_add_f64 v[10:11], v[10:11], v[22:23]
	v_add_f64 v[12:13], v[12:13], v[24:25]
	;; [unrolled: 1-line block ×4, first 2 shown]
	v_fma_f64 v[82:83], v[8:9], s[4:5], -v[82:83]
	v_add_f64 v[54:55], v[54:55], v[76:77]
	v_mul_f64 v[22:23], v[60:61], s[16:17]
	v_mul_f64 v[24:25], v[62:63], s[16:17]
	v_fma_f64 v[76:77], v[6:7], s[14:15], -v[56:57]
	v_fma_f64 v[78:79], v[8:9], s[14:15], v[64:65]
	v_fma_f64 v[6:7], v[6:7], s[14:15], v[56:57]
	v_fma_f64 v[8:9], v[8:9], s[14:15], -v[64:65]
	v_mul_f64 v[56:57], v[60:61], s[26:27]
	v_add_f64 v[50:51], v[82:83], v[50:51]
	v_fma_f64 v[72:73], v[10:11], s[14:15], -v[22:23]
	v_fma_f64 v[74:75], v[12:13], s[14:15], v[24:25]
	v_fma_f64 v[22:23], v[10:11], s[14:15], v[22:23]
	v_fma_f64 v[24:25], v[12:13], s[14:15], -v[24:25]
	v_mul_f64 v[64:65], v[62:63], s[26:27]
	v_add_f64 v[4:5], v[8:9], v[4:5]
	v_fma_f64 v[8:9], v[10:11], s[6:7], -v[56:57]
	v_fma_f64 v[56:57], v[10:11], s[6:7], v[56:57]
	v_add_f64 v[36:37], v[72:73], v[36:37]
	v_add_f64 v[40:41], v[74:75], v[40:41]
	;; [unrolled: 1-line block ×4, first 2 shown]
	v_mul_f64 v[28:29], v[60:61], s[20:21]
	v_mul_f64 v[34:35], v[62:63], s[20:21]
	v_add_f64 v[6:7], v[6:7], v[26:27]
	v_fma_f64 v[26:27], v[12:13], s[6:7], v[64:65]
	v_add_f64 v[38:39], v[8:9], v[38:39]
	v_mul_f64 v[8:9], v[60:61], s[22:23]
	v_fma_f64 v[64:65], v[12:13], s[6:7], -v[64:65]
	v_add_f64 v[44:45], v[56:57], v[44:45]
	v_fma_f64 v[72:73], v[10:11], s[12:13], -v[28:29]
	v_fma_f64 v[74:75], v[12:13], s[12:13], v[34:35]
	v_fma_f64 v[28:29], v[10:11], s[12:13], v[28:29]
	v_fma_f64 v[34:35], v[12:13], s[12:13], -v[34:35]
	v_mul_f64 v[56:57], v[60:61], s[10:11]
	v_mul_f64 v[60:61], v[62:63], s[10:11]
	v_add_f64 v[58:59], v[76:77], v[58:59]
	v_add_f64 v[68:69], v[78:79], v[68:69]
	;; [unrolled: 1-line block ×3, first 2 shown]
	v_mul_f64 v[42:43], v[62:63], s[22:23]
	v_add_f64 v[28:29], v[28:29], v[48:49]
	v_add_f64 v[34:35], v[34:35], v[50:51]
	v_add_f64 v[48:49], v[16:17], -v[20:21]
	v_add_f64 v[50:51], v[14:15], -v[18:19]
	v_fma_f64 v[76:77], v[10:11], s[18:19], -v[8:9]
	v_add_f64 v[46:47], v[64:65], v[46:47]
	v_fma_f64 v[8:9], v[10:11], s[18:19], v[8:9]
	v_add_f64 v[62:63], v[14:15], v[18:19]
	v_add_f64 v[64:65], v[16:17], v[20:21]
	v_fma_f64 v[18:19], v[10:11], s[4:5], -v[56:57]
	v_mul_f64 v[14:15], v[48:49], s[22:23]
	v_mul_f64 v[16:17], v[50:51], s[22:23]
	v_fma_f64 v[20:21], v[12:13], s[4:5], v[60:61]
	v_fma_f64 v[78:79], v[12:13], s[18:19], v[42:43]
	v_fma_f64 v[42:43], v[12:13], s[18:19], -v[42:43]
	v_add_f64 v[66:67], v[8:9], v[66:67]
	v_fma_f64 v[8:9], v[10:11], s[4:5], v[56:57]
	v_fma_f64 v[10:11], v[12:13], s[4:5], -v[60:61]
	v_fma_f64 v[12:13], v[62:63], s[18:19], -v[14:15]
	v_fma_f64 v[56:57], v[64:65], s[18:19], v[16:17]
	v_add_f64 v[58:59], v[18:19], v[58:59]
	v_add_f64 v[60:61], v[20:21], v[68:69]
	v_mul_f64 v[18:19], v[48:49], s[24:25]
	v_mul_f64 v[20:21], v[50:51], s[24:25]
	v_add_f64 v[42:43], v[42:43], v[70:71]
	v_add_f64 v[68:69], v[8:9], v[6:7]
	;; [unrolled: 1-line block ×5, first 2 shown]
	v_fma_f64 v[8:9], v[62:63], s[18:19], v[14:15]
	v_fma_f64 v[10:11], v[64:65], s[18:19], -v[16:17]
	v_fma_f64 v[12:13], v[62:63], s[12:13], -v[18:19]
	v_fma_f64 v[14:15], v[64:65], s[12:13], v[20:21]
	v_mul_f64 v[36:37], v[48:49], s[16:17]
	v_mul_f64 v[40:41], v[50:51], s[16:17]
	v_fma_f64 v[16:17], v[62:63], s[12:13], v[18:19]
	v_fma_f64 v[18:19], v[64:65], s[12:13], -v[20:21]
	v_add_f64 v[8:9], v[8:9], v[22:23]
	v_add_f64 v[10:11], v[10:11], v[24:25]
	;; [unrolled: 1-line block ×4, first 2 shown]
	v_fma_f64 v[20:21], v[62:63], s[14:15], -v[36:37]
	v_fma_f64 v[24:25], v[62:63], s[14:15], v[36:37]
	v_fma_f64 v[26:27], v[64:65], s[14:15], -v[40:41]
	v_mul_f64 v[36:37], v[48:49], s[10:11]
	v_mul_f64 v[38:39], v[50:51], s[10:11]
	v_fma_f64 v[22:23], v[64:65], s[14:15], v[40:41]
	v_add_f64 v[16:17], v[16:17], v[44:45]
	v_mul_f64 v[40:41], v[48:49], s[8:9]
	v_mul_f64 v[44:45], v[50:51], s[8:9]
	v_add_f64 v[52:53], v[72:73], v[52:53]
	v_add_f64 v[54:55], v[74:75], v[54:55]
	;; [unrolled: 1-line block ×6, first 2 shown]
	v_fma_f64 v[28:29], v[62:63], s[4:5], -v[36:37]
	v_fma_f64 v[34:35], v[64:65], s[4:5], v[38:39]
	v_add_f64 v[18:19], v[18:19], v[46:47]
	v_fma_f64 v[36:37], v[62:63], s[4:5], v[36:37]
	v_fma_f64 v[38:39], v[64:65], s[4:5], -v[38:39]
	v_fma_f64 v[46:47], v[62:63], s[6:7], -v[40:41]
	v_fma_f64 v[48:49], v[64:65], s[6:7], v[44:45]
	v_fma_f64 v[40:41], v[62:63], s[6:7], v[40:41]
	v_fma_f64 v[44:45], v[64:65], s[6:7], -v[44:45]
	v_add_f64 v[20:21], v[20:21], v[52:53]
	v_add_f64 v[22:23], v[22:23], v[54:55]
	;; [unrolled: 1-line block ×10, first 2 shown]
	ds_write_b128 v109, v[0:3]
	ds_write_b128 v109, v[4:7] offset:1088
	ds_write_b128 v109, v[12:15] offset:2176
	;; [unrolled: 1-line block ×10, first 2 shown]
	s_waitcnt lgkmcnt(0)
	s_barrier
	s_and_saveexec_b64 s[4:5], s[0:1]
	s_cbranch_execz .LBB0_26
; %bb.25:
	v_lshl_add_u32 v10, v108, 4, v216
	v_mov_b32_e32 v109, 0
	ds_read_b128 v[0:3], v10
	v_mov_b32_e32 v4, s3
	v_add_co_u32_e32 v11, vcc, s2, v110
	v_addc_co_u32_e32 v12, vcc, v4, v111, vcc
	v_lshlrev_b64 v[4:5], 4, v[108:109]
	v_add_co_u32_e32 v8, vcc, v11, v4
	v_addc_co_u32_e32 v9, vcc, v12, v5, vcc
	ds_read_b128 v[4:7], v10 offset:1088
	s_waitcnt lgkmcnt(1)
	global_store_dwordx4 v[8:9], v[0:3], off
	s_nop 0
	v_add_u32_e32 v0, 0x44, v108
	v_mov_b32_e32 v1, v109
	v_lshlrev_b64 v[0:1], 4, v[0:1]
	v_add_co_u32_e32 v0, vcc, v11, v0
	v_addc_co_u32_e32 v1, vcc, v12, v1, vcc
	s_waitcnt lgkmcnt(0)
	global_store_dwordx4 v[0:1], v[4:7], off
	ds_read_b128 v[0:3], v10 offset:2176
	v_add_u32_e32 v4, 0x88, v108
	v_mov_b32_e32 v5, v109
	v_lshlrev_b64 v[4:5], 4, v[4:5]
	v_add_co_u32_e32 v8, vcc, v11, v4
	v_addc_co_u32_e32 v9, vcc, v12, v5, vcc
	ds_read_b128 v[4:7], v10 offset:3264
	s_waitcnt lgkmcnt(1)
	global_store_dwordx4 v[8:9], v[0:3], off
	s_nop 0
	v_add_u32_e32 v0, 0xcc, v108
	v_mov_b32_e32 v1, v109
	v_lshlrev_b64 v[0:1], 4, v[0:1]
	v_add_co_u32_e32 v0, vcc, v11, v0
	v_addc_co_u32_e32 v1, vcc, v12, v1, vcc
	s_waitcnt lgkmcnt(0)
	global_store_dwordx4 v[0:1], v[4:7], off
	ds_read_b128 v[0:3], v10 offset:4352
	v_add_u32_e32 v4, 0x110, v108
	v_mov_b32_e32 v5, v109
	;; [unrolled: 17-line block ×4, first 2 shown]
	v_lshlrev_b64 v[4:5], 4, v[4:5]
	v_add_co_u32_e32 v8, vcc, v11, v4
	v_addc_co_u32_e32 v9, vcc, v12, v5, vcc
	ds_read_b128 v[4:7], v10 offset:9792
	s_waitcnt lgkmcnt(1)
	global_store_dwordx4 v[8:9], v[0:3], off
	s_nop 0
	v_add_u32_e32 v0, 0x264, v108
	v_mov_b32_e32 v1, v109
	v_lshlrev_b64 v[0:1], 4, v[0:1]
	v_add_u32_e32 v108, 0x2a8, v108
	v_add_co_u32_e32 v0, vcc, v11, v0
	v_addc_co_u32_e32 v1, vcc, v12, v1, vcc
	s_waitcnt lgkmcnt(0)
	global_store_dwordx4 v[0:1], v[4:7], off
	ds_read_b128 v[0:3], v10 offset:10880
	v_lshlrev_b64 v[4:5], 4, v[108:109]
	v_add_co_u32_e32 v4, vcc, v11, v4
	v_addc_co_u32_e32 v5, vcc, v12, v5, vcc
	s_waitcnt lgkmcnt(0)
	global_store_dwordx4 v[4:5], v[0:3], off
.LBB0_26:
	s_endpgm
	.section	.rodata,"a",@progbits
	.p2align	6, 0x0
	.amdhsa_kernel fft_rtc_fwd_len748_factors_17_4_11_wgs_204_tpt_68_halfLds_dp_ip_CI_unitstride_sbrr_C2R_dirReg
		.amdhsa_group_segment_fixed_size 0
		.amdhsa_private_segment_fixed_size 0
		.amdhsa_kernarg_size 88
		.amdhsa_user_sgpr_count 6
		.amdhsa_user_sgpr_private_segment_buffer 1
		.amdhsa_user_sgpr_dispatch_ptr 0
		.amdhsa_user_sgpr_queue_ptr 0
		.amdhsa_user_sgpr_kernarg_segment_ptr 1
		.amdhsa_user_sgpr_dispatch_id 0
		.amdhsa_user_sgpr_flat_scratch_init 0
		.amdhsa_user_sgpr_private_segment_size 0
		.amdhsa_uses_dynamic_stack 0
		.amdhsa_system_sgpr_private_segment_wavefront_offset 0
		.amdhsa_system_sgpr_workgroup_id_x 1
		.amdhsa_system_sgpr_workgroup_id_y 0
		.amdhsa_system_sgpr_workgroup_id_z 0
		.amdhsa_system_sgpr_workgroup_info 0
		.amdhsa_system_vgpr_workitem_id 0
		.amdhsa_next_free_vgpr 249
		.amdhsa_next_free_sgpr 58
		.amdhsa_reserve_vcc 1
		.amdhsa_reserve_flat_scratch 0
		.amdhsa_float_round_mode_32 0
		.amdhsa_float_round_mode_16_64 0
		.amdhsa_float_denorm_mode_32 3
		.amdhsa_float_denorm_mode_16_64 3
		.amdhsa_dx10_clamp 1
		.amdhsa_ieee_mode 1
		.amdhsa_fp16_overflow 0
		.amdhsa_exception_fp_ieee_invalid_op 0
		.amdhsa_exception_fp_denorm_src 0
		.amdhsa_exception_fp_ieee_div_zero 0
		.amdhsa_exception_fp_ieee_overflow 0
		.amdhsa_exception_fp_ieee_underflow 0
		.amdhsa_exception_fp_ieee_inexact 0
		.amdhsa_exception_int_div_zero 0
	.end_amdhsa_kernel
	.text
.Lfunc_end0:
	.size	fft_rtc_fwd_len748_factors_17_4_11_wgs_204_tpt_68_halfLds_dp_ip_CI_unitstride_sbrr_C2R_dirReg, .Lfunc_end0-fft_rtc_fwd_len748_factors_17_4_11_wgs_204_tpt_68_halfLds_dp_ip_CI_unitstride_sbrr_C2R_dirReg
                                        ; -- End function
	.section	.AMDGPU.csdata,"",@progbits
; Kernel info:
; codeLenInByte = 14128
; NumSgprs: 62
; NumVgprs: 249
; ScratchSize: 0
; MemoryBound: 0
; FloatMode: 240
; IeeeMode: 1
; LDSByteSize: 0 bytes/workgroup (compile time only)
; SGPRBlocks: 7
; VGPRBlocks: 62
; NumSGPRsForWavesPerEU: 62
; NumVGPRsForWavesPerEU: 249
; Occupancy: 1
; WaveLimiterHint : 1
; COMPUTE_PGM_RSRC2:SCRATCH_EN: 0
; COMPUTE_PGM_RSRC2:USER_SGPR: 6
; COMPUTE_PGM_RSRC2:TRAP_HANDLER: 0
; COMPUTE_PGM_RSRC2:TGID_X_EN: 1
; COMPUTE_PGM_RSRC2:TGID_Y_EN: 0
; COMPUTE_PGM_RSRC2:TGID_Z_EN: 0
; COMPUTE_PGM_RSRC2:TIDIG_COMP_CNT: 0
	.type	__hip_cuid_9929288ee460c833,@object ; @__hip_cuid_9929288ee460c833
	.section	.bss,"aw",@nobits
	.globl	__hip_cuid_9929288ee460c833
__hip_cuid_9929288ee460c833:
	.byte	0                               ; 0x0
	.size	__hip_cuid_9929288ee460c833, 1

	.ident	"AMD clang version 19.0.0git (https://github.com/RadeonOpenCompute/llvm-project roc-6.4.0 25133 c7fe45cf4b819c5991fe208aaa96edf142730f1d)"
	.section	".note.GNU-stack","",@progbits
	.addrsig
	.addrsig_sym __hip_cuid_9929288ee460c833
	.amdgpu_metadata
---
amdhsa.kernels:
  - .args:
      - .actual_access:  read_only
        .address_space:  global
        .offset:         0
        .size:           8
        .value_kind:     global_buffer
      - .offset:         8
        .size:           8
        .value_kind:     by_value
      - .actual_access:  read_only
        .address_space:  global
        .offset:         16
        .size:           8
        .value_kind:     global_buffer
      - .actual_access:  read_only
        .address_space:  global
        .offset:         24
        .size:           8
        .value_kind:     global_buffer
      - .offset:         32
        .size:           8
        .value_kind:     by_value
      - .actual_access:  read_only
        .address_space:  global
        .offset:         40
        .size:           8
        .value_kind:     global_buffer
      - .actual_access:  read_only
        .address_space:  global
        .offset:         48
        .size:           8
        .value_kind:     global_buffer
      - .offset:         56
        .size:           4
        .value_kind:     by_value
      - .actual_access:  read_only
        .address_space:  global
        .offset:         64
        .size:           8
        .value_kind:     global_buffer
      - .actual_access:  read_only
        .address_space:  global
        .offset:         72
        .size:           8
        .value_kind:     global_buffer
      - .address_space:  global
        .offset:         80
        .size:           8
        .value_kind:     global_buffer
    .group_segment_fixed_size: 0
    .kernarg_segment_align: 8
    .kernarg_segment_size: 88
    .language:       OpenCL C
    .language_version:
      - 2
      - 0
    .max_flat_workgroup_size: 204
    .name:           fft_rtc_fwd_len748_factors_17_4_11_wgs_204_tpt_68_halfLds_dp_ip_CI_unitstride_sbrr_C2R_dirReg
    .private_segment_fixed_size: 0
    .sgpr_count:     62
    .sgpr_spill_count: 0
    .symbol:         fft_rtc_fwd_len748_factors_17_4_11_wgs_204_tpt_68_halfLds_dp_ip_CI_unitstride_sbrr_C2R_dirReg.kd
    .uniform_work_group_size: 1
    .uses_dynamic_stack: false
    .vgpr_count:     249
    .vgpr_spill_count: 0
    .wavefront_size: 64
amdhsa.target:   amdgcn-amd-amdhsa--gfx906
amdhsa.version:
  - 1
  - 2
...

	.end_amdgpu_metadata
